;; amdgpu-corpus repo=ROCm/rocFFT kind=compiled arch=gfx906 opt=O3
	.text
	.amdgcn_target "amdgcn-amd-amdhsa--gfx906"
	.amdhsa_code_object_version 6
	.protected	fft_rtc_back_len1960_factors_4_7_2_7_5_wgs_56_tpt_56_halfLds_sp_op_CI_CI_unitstride_sbrr_dirReg ; -- Begin function fft_rtc_back_len1960_factors_4_7_2_7_5_wgs_56_tpt_56_halfLds_sp_op_CI_CI_unitstride_sbrr_dirReg
	.globl	fft_rtc_back_len1960_factors_4_7_2_7_5_wgs_56_tpt_56_halfLds_sp_op_CI_CI_unitstride_sbrr_dirReg
	.p2align	8
	.type	fft_rtc_back_len1960_factors_4_7_2_7_5_wgs_56_tpt_56_halfLds_sp_op_CI_CI_unitstride_sbrr_dirReg,@function
fft_rtc_back_len1960_factors_4_7_2_7_5_wgs_56_tpt_56_halfLds_sp_op_CI_CI_unitstride_sbrr_dirReg: ; @fft_rtc_back_len1960_factors_4_7_2_7_5_wgs_56_tpt_56_halfLds_sp_op_CI_CI_unitstride_sbrr_dirReg
; %bb.0:
	s_load_dwordx4 s[8:11], s[4:5], 0x58
	s_load_dwordx4 s[12:15], s[4:5], 0x0
	;; [unrolled: 1-line block ×3, first 2 shown]
	v_mul_u32_u24_e32 v1, 0x493, v0
	v_mov_b32_e32 v7, 0
	v_mov_b32_e32 v5, 0
	s_waitcnt lgkmcnt(0)
	v_cmp_lt_u64_e64 s[0:1], s[14:15], 2
	v_add_u32_sdwa v9, s6, v1 dst_sel:DWORD dst_unused:UNUSED_PAD src0_sel:DWORD src1_sel:WORD_1
	v_mov_b32_e32 v10, v7
	s_and_b64 vcc, exec, s[0:1]
	v_mov_b32_e32 v6, 0
	s_cbranch_vccnz .LBB0_8
; %bb.1:
	s_load_dwordx2 s[0:1], s[4:5], 0x10
	s_add_u32 s2, s18, 8
	s_addc_u32 s3, s19, 0
	s_add_u32 s6, s16, 8
	s_addc_u32 s7, s17, 0
	v_mov_b32_e32 v5, 0
	s_waitcnt lgkmcnt(0)
	s_add_u32 s20, s0, 8
	v_mov_b32_e32 v6, 0
	v_mov_b32_e32 v1, v5
	s_addc_u32 s21, s1, 0
	s_mov_b64 s[22:23], 1
	v_mov_b32_e32 v2, v6
.LBB0_2:                                ; =>This Inner Loop Header: Depth=1
	s_load_dwordx2 s[24:25], s[20:21], 0x0
                                        ; implicit-def: $vgpr3_vgpr4
	s_waitcnt lgkmcnt(0)
	v_or_b32_e32 v8, s25, v10
	v_cmp_ne_u64_e32 vcc, 0, v[7:8]
	s_and_saveexec_b64 s[0:1], vcc
	s_xor_b64 s[26:27], exec, s[0:1]
	s_cbranch_execz .LBB0_4
; %bb.3:                                ;   in Loop: Header=BB0_2 Depth=1
	v_cvt_f32_u32_e32 v3, s24
	v_cvt_f32_u32_e32 v4, s25
	s_sub_u32 s0, 0, s24
	s_subb_u32 s1, 0, s25
	v_mac_f32_e32 v3, 0x4f800000, v4
	v_rcp_f32_e32 v3, v3
	v_mul_f32_e32 v3, 0x5f7ffffc, v3
	v_mul_f32_e32 v4, 0x2f800000, v3
	v_trunc_f32_e32 v4, v4
	v_mac_f32_e32 v3, 0xcf800000, v4
	v_cvt_u32_f32_e32 v4, v4
	v_cvt_u32_f32_e32 v3, v3
	v_mul_lo_u32 v8, s0, v4
	v_mul_hi_u32 v11, s0, v3
	v_mul_lo_u32 v13, s1, v3
	v_mul_lo_u32 v12, s0, v3
	v_add_u32_e32 v8, v11, v8
	v_add_u32_e32 v8, v8, v13
	v_mul_hi_u32 v11, v3, v12
	v_mul_lo_u32 v13, v3, v8
	v_mul_hi_u32 v15, v3, v8
	v_mul_hi_u32 v14, v4, v12
	v_mul_lo_u32 v12, v4, v12
	v_mul_hi_u32 v16, v4, v8
	v_add_co_u32_e32 v11, vcc, v11, v13
	v_addc_co_u32_e32 v13, vcc, 0, v15, vcc
	v_mul_lo_u32 v8, v4, v8
	v_add_co_u32_e32 v11, vcc, v11, v12
	v_addc_co_u32_e32 v11, vcc, v13, v14, vcc
	v_addc_co_u32_e32 v12, vcc, 0, v16, vcc
	v_add_co_u32_e32 v8, vcc, v11, v8
	v_addc_co_u32_e32 v11, vcc, 0, v12, vcc
	v_add_co_u32_e32 v3, vcc, v3, v8
	v_addc_co_u32_e32 v4, vcc, v4, v11, vcc
	v_mul_lo_u32 v8, s0, v4
	v_mul_hi_u32 v11, s0, v3
	v_mul_lo_u32 v12, s1, v3
	v_mul_lo_u32 v13, s0, v3
	v_add_u32_e32 v8, v11, v8
	v_add_u32_e32 v8, v8, v12
	v_mul_lo_u32 v14, v3, v8
	v_mul_hi_u32 v15, v3, v13
	v_mul_hi_u32 v16, v3, v8
	v_mul_hi_u32 v12, v4, v13
	v_mul_lo_u32 v13, v4, v13
	v_mul_hi_u32 v11, v4, v8
	v_add_co_u32_e32 v14, vcc, v15, v14
	v_addc_co_u32_e32 v15, vcc, 0, v16, vcc
	v_mul_lo_u32 v8, v4, v8
	v_add_co_u32_e32 v13, vcc, v14, v13
	v_addc_co_u32_e32 v12, vcc, v15, v12, vcc
	v_addc_co_u32_e32 v11, vcc, 0, v11, vcc
	v_add_co_u32_e32 v8, vcc, v12, v8
	v_addc_co_u32_e32 v11, vcc, 0, v11, vcc
	v_add_co_u32_e32 v8, vcc, v3, v8
	v_addc_co_u32_e32 v11, vcc, v4, v11, vcc
	v_mad_u64_u32 v[3:4], s[0:1], v9, v11, 0
	v_mul_hi_u32 v12, v9, v8
	v_add_co_u32_e32 v13, vcc, v12, v3
	v_addc_co_u32_e32 v14, vcc, 0, v4, vcc
	v_mad_u64_u32 v[3:4], s[0:1], v10, v8, 0
	v_mad_u64_u32 v[11:12], s[0:1], v10, v11, 0
	v_add_co_u32_e32 v3, vcc, v13, v3
	v_addc_co_u32_e32 v3, vcc, v14, v4, vcc
	v_addc_co_u32_e32 v4, vcc, 0, v12, vcc
	v_add_co_u32_e32 v8, vcc, v3, v11
	v_addc_co_u32_e32 v11, vcc, 0, v4, vcc
	v_mul_lo_u32 v12, s25, v8
	v_mul_lo_u32 v13, s24, v11
	v_mad_u64_u32 v[3:4], s[0:1], s24, v8, 0
	v_add3_u32 v4, v4, v13, v12
	v_sub_u32_e32 v12, v10, v4
	v_mov_b32_e32 v13, s25
	v_sub_co_u32_e32 v3, vcc, v9, v3
	v_subb_co_u32_e64 v12, s[0:1], v12, v13, vcc
	v_subrev_co_u32_e64 v13, s[0:1], s24, v3
	v_subbrev_co_u32_e64 v12, s[0:1], 0, v12, s[0:1]
	v_cmp_le_u32_e64 s[0:1], s25, v12
	v_cndmask_b32_e64 v14, 0, -1, s[0:1]
	v_cmp_le_u32_e64 s[0:1], s24, v13
	v_cndmask_b32_e64 v13, 0, -1, s[0:1]
	v_cmp_eq_u32_e64 s[0:1], s25, v12
	v_cndmask_b32_e64 v12, v14, v13, s[0:1]
	v_add_co_u32_e64 v13, s[0:1], 2, v8
	v_addc_co_u32_e64 v14, s[0:1], 0, v11, s[0:1]
	v_add_co_u32_e64 v15, s[0:1], 1, v8
	v_addc_co_u32_e64 v16, s[0:1], 0, v11, s[0:1]
	v_subb_co_u32_e32 v4, vcc, v10, v4, vcc
	v_cmp_ne_u32_e64 s[0:1], 0, v12
	v_cmp_le_u32_e32 vcc, s25, v4
	v_cndmask_b32_e64 v12, v16, v14, s[0:1]
	v_cndmask_b32_e64 v14, 0, -1, vcc
	v_cmp_le_u32_e32 vcc, s24, v3
	v_cndmask_b32_e64 v3, 0, -1, vcc
	v_cmp_eq_u32_e32 vcc, s25, v4
	v_cndmask_b32_e32 v3, v14, v3, vcc
	v_cmp_ne_u32_e32 vcc, 0, v3
	v_cndmask_b32_e64 v3, v15, v13, s[0:1]
	v_cndmask_b32_e32 v4, v11, v12, vcc
	v_cndmask_b32_e32 v3, v8, v3, vcc
.LBB0_4:                                ;   in Loop: Header=BB0_2 Depth=1
	s_andn2_saveexec_b64 s[0:1], s[26:27]
	s_cbranch_execz .LBB0_6
; %bb.5:                                ;   in Loop: Header=BB0_2 Depth=1
	v_cvt_f32_u32_e32 v3, s24
	s_sub_i32 s26, 0, s24
	v_rcp_iflag_f32_e32 v3, v3
	v_mul_f32_e32 v3, 0x4f7ffffe, v3
	v_cvt_u32_f32_e32 v3, v3
	v_mul_lo_u32 v4, s26, v3
	v_mul_hi_u32 v4, v3, v4
	v_add_u32_e32 v3, v3, v4
	v_mul_hi_u32 v3, v9, v3
	v_mul_lo_u32 v4, v3, s24
	v_add_u32_e32 v8, 1, v3
	v_sub_u32_e32 v4, v9, v4
	v_subrev_u32_e32 v11, s24, v4
	v_cmp_le_u32_e32 vcc, s24, v4
	v_cndmask_b32_e32 v4, v4, v11, vcc
	v_cndmask_b32_e32 v3, v3, v8, vcc
	v_add_u32_e32 v8, 1, v3
	v_cmp_le_u32_e32 vcc, s24, v4
	v_cndmask_b32_e32 v3, v3, v8, vcc
	v_mov_b32_e32 v4, v7
.LBB0_6:                                ;   in Loop: Header=BB0_2 Depth=1
	s_or_b64 exec, exec, s[0:1]
	v_mul_lo_u32 v8, v4, s24
	v_mul_lo_u32 v13, v3, s25
	v_mad_u64_u32 v[11:12], s[0:1], v3, s24, 0
	s_load_dwordx2 s[0:1], s[6:7], 0x0
	s_load_dwordx2 s[24:25], s[2:3], 0x0
	v_add3_u32 v8, v12, v13, v8
	v_sub_co_u32_e32 v9, vcc, v9, v11
	v_subb_co_u32_e32 v8, vcc, v10, v8, vcc
	s_waitcnt lgkmcnt(0)
	v_mul_lo_u32 v10, s0, v8
	v_mul_lo_u32 v11, s1, v9
	v_mad_u64_u32 v[5:6], s[0:1], s0, v9, v[5:6]
	v_mul_lo_u32 v8, s24, v8
	v_mul_lo_u32 v12, s25, v9
	v_mad_u64_u32 v[1:2], s[0:1], s24, v9, v[1:2]
	s_add_u32 s22, s22, 1
	s_addc_u32 s23, s23, 0
	s_add_u32 s2, s2, 8
	v_add3_u32 v2, v12, v2, v8
	s_addc_u32 s3, s3, 0
	v_mov_b32_e32 v8, s14
	s_add_u32 s6, s6, 8
	v_mov_b32_e32 v9, s15
	s_addc_u32 s7, s7, 0
	v_cmp_ge_u64_e32 vcc, s[22:23], v[8:9]
	s_add_u32 s20, s20, 8
	v_add3_u32 v6, v11, v6, v10
	s_addc_u32 s21, s21, 0
	s_cbranch_vccnz .LBB0_9
; %bb.7:                                ;   in Loop: Header=BB0_2 Depth=1
	v_mov_b32_e32 v10, v4
	v_mov_b32_e32 v9, v3
	s_branch .LBB0_2
.LBB0_8:
	v_mov_b32_e32 v1, v5
	v_mov_b32_e32 v3, v9
	;; [unrolled: 1-line block ×4, first 2 shown]
.LBB0_9:
	s_load_dwordx2 s[2:3], s[4:5], 0x28
	s_lshl_b64 s[6:7], s[14:15], 3
	s_add_u32 s4, s18, s6
	s_addc_u32 s5, s19, s7
                                        ; implicit-def: $sgpr14
                                        ; implicit-def: $vgpr110
                                        ; implicit-def: $vgpr90
	s_waitcnt lgkmcnt(0)
	v_cmp_gt_u64_e64 s[0:1], s[2:3], v[3:4]
	v_cmp_le_u64_e32 vcc, s[2:3], v[3:4]
	s_and_saveexec_b64 s[2:3], vcc
	s_xor_b64 s[2:3], exec, s[2:3]
; %bb.10:
	s_mov_b32 s14, 0x4924925
	v_mul_hi_u32 v5, v0, s14
	s_mov_b32 s14, 0
	v_mul_u32_u24_e32 v5, 56, v5
	v_sub_u32_e32 v110, v0, v5
	v_or_b32_e32 v90, 0x1c0, v110
                                        ; implicit-def: $vgpr0
                                        ; implicit-def: $vgpr5_vgpr6
; %bb.11:
	s_or_saveexec_b64 s[2:3], s[2:3]
	s_load_dwordx2 s[4:5], s[4:5], 0x0
	v_mov_b32_e32 v9, s14
	v_mov_b32_e32 v8, s14
	;; [unrolled: 1-line block ×4, first 2 shown]
                                        ; implicit-def: $vgpr57
                                        ; implicit-def: $vgpr59
                                        ; implicit-def: $vgpr53
                                        ; implicit-def: $vgpr17
                                        ; implicit-def: $vgpr11
                                        ; implicit-def: $vgpr7
                                        ; implicit-def: $vgpr63
                                        ; implicit-def: $vgpr13
                                        ; implicit-def: $vgpr23
                                        ; implicit-def: $vgpr31
                                        ; implicit-def: $vgpr75
                                        ; implicit-def: $vgpr51
                                        ; implicit-def: $vgpr19
                                        ; implicit-def: $vgpr21
                                        ; implicit-def: $vgpr69
                                        ; implicit-def: $vgpr47
                                        ; implicit-def: $vgpr27
                                        ; implicit-def: $vgpr37
                                        ; implicit-def: $vgpr43
                                        ; implicit-def: $vgpr39
                                        ; implicit-def: $vgpr35
                                        ; implicit-def: $vgpr67
                                        ; implicit-def: $vgpr49
                                        ; implicit-def: $vgpr41
                                        ; implicit-def: $vgpr33
                                        ; implicit-def: $vgpr45
                                        ; implicit-def: $vgpr25
                                        ; implicit-def: $vgpr29
                                        ; implicit-def: $vgpr55
                                        ; implicit-def: $vgpr71
                                        ; implicit-def: $vgpr61
                                        ; implicit-def: $vgpr65
                                        ; implicit-def: $vgpr73
                                        ; implicit-def: $vgpr77
	s_xor_b64 exec, exec, s[2:3]
	s_cbranch_execz .LBB0_15
; %bb.12:
	s_add_u32 s6, s16, s6
	s_addc_u32 s7, s17, s7
	s_load_dwordx2 s[6:7], s[6:7], 0x0
	s_mov_b32 s14, 0x4924925
	v_mul_hi_u32 v9, v0, s14
	v_lshlrev_b64 v[5:6], 3, v[5:6]
                                        ; implicit-def: $vgpr70
                                        ; implicit-def: $vgpr54
	s_waitcnt lgkmcnt(0)
	v_mul_lo_u32 v10, s7, v3
	v_mul_lo_u32 v11, s6, v4
	v_mad_u64_u32 v[7:8], s[6:7], s6, v3, 0
	v_mul_u32_u24_e32 v9, 56, v9
	v_sub_u32_e32 v110, v0, v9
	v_add3_u32 v8, v8, v11, v10
	v_lshlrev_b64 v[7:8], 3, v[7:8]
	v_mov_b32_e32 v0, s9
	v_add_co_u32_e32 v7, vcc, s8, v7
	v_addc_co_u32_e32 v0, vcc, v0, v8, vcc
	v_add_co_u32_e32 v5, vcc, v7, v5
	v_addc_co_u32_e32 v0, vcc, v0, v6, vcc
	v_lshlrev_b32_e32 v6, 3, v110
	v_add_co_u32_e32 v78, vcc, v5, v6
	v_addc_co_u32_e32 v79, vcc, 0, v0, vcc
	s_movk_i32 s6, 0x1000
	v_add_co_u32_e32 v8, vcc, s6, v78
	v_addc_co_u32_e32 v9, vcc, 0, v79, vcc
	s_movk_i32 s6, 0x2000
	;; [unrolled: 3-line block ×3, first 2 shown]
	v_add_co_u32_e32 v44, vcc, s6, v78
	v_addc_co_u32_e32 v45, vcc, 0, v79, vcc
	global_load_dwordx2 v[22:23], v[8:9], off offset:720
	global_load_dwordx2 v[18:19], v[8:9], off offset:1168
	;; [unrolled: 1-line block ×24, first 2 shown]
	global_load_dwordx2 v[56:57], v[78:79], off
	global_load_dwordx2 v[16:17], v[78:79], off offset:448
	global_load_dwordx2 v[12:13], v[78:79], off offset:896
	;; [unrolled: 1-line block ×5, first 2 shown]
                                        ; kill: killed $vgpr8 killed $vgpr9
                                        ; kill: killed $vgpr14 killed $vgpr15
                                        ; kill: killed $vgpr44 killed $vgpr45
	global_load_dwordx2 v[48:49], v[78:79], off offset:2688
	global_load_dwordx2 v[44:45], v[78:79], off offset:3136
	s_movk_i32 s6, 0x1ea
	v_or_b32_e32 v90, 0x1c0, v110
	v_cmp_gt_u32_e32 vcc, s6, v90
	v_mov_b32_e32 v14, 0
	v_mov_b32_e32 v15, 0
	;; [unrolled: 1-line block ×4, first 2 shown]
	s_and_saveexec_b64 s[6:7], vcc
	s_cbranch_execz .LBB0_14
; %bb.13:
	v_add_co_u32_e32 v80, vcc, 0x1000, v78
	v_addc_co_u32_e32 v81, vcc, 0, v79, vcc
	v_add_co_u32_e32 v82, vcc, 0x2000, v78
	v_addc_co_u32_e32 v83, vcc, 0, v79, vcc
	;; [unrolled: 2-line block ×3, first 2 shown]
	global_load_dwordx2 v[8:9], v[78:79], off offset:3584
	global_load_dwordx2 v[14:15], v[80:81], off offset:3408
	;; [unrolled: 1-line block ×4, first 2 shown]
.LBB0_14:
	s_or_b64 exec, exec, s[6:7]
.LBB0_15:
	s_or_b64 exec, exec, s[2:3]
	s_waitcnt vmcnt(7)
	v_sub_f32_e32 v5, v56, v52
	v_sub_f32_e32 v0, v58, v76
	v_fma_f32 v56, v56, 2.0, -v5
	v_fma_f32 v58, v58, 2.0, -v0
	v_sub_f32_e32 v52, v59, v77
	v_sub_f32_e32 v76, v56, v58
	v_fma_f32 v78, v56, 2.0, -v76
	v_add_f32_e32 v77, v5, v52
	s_waitcnt vmcnt(6)
	v_sub_f32_e32 v56, v16, v6
	v_sub_f32_e32 v91, v10, v62
	v_fma_f32 v79, v5, 2.0, -v77
	v_fma_f32 v6, v16, 2.0, -v56
	;; [unrolled: 1-line block ×3, first 2 shown]
	v_sub_f32_e32 v95, v11, v63
	v_sub_f32_e32 v5, v6, v5
	v_fma_f32 v62, v6, 2.0, -v5
	v_add_f32_e32 v6, v56, v95
	v_add_u32_e32 v111, 56, v110
	v_fma_f32 v63, v56, 2.0, -v6
	v_lshl_add_u32 v92, v111, 4, 0
	s_waitcnt vmcnt(5)
	v_sub_f32_e32 v10, v12, v30
	v_sub_f32_e32 v94, v22, v74
	ds_write2_b64 v92, v[62:63], v[5:6] offset1:1
	v_fma_f32 v12, v12, 2.0, -v10
	v_sub_f32_e32 v97, v23, v75
	v_fma_f32 v5, v22, 2.0, -v94
	v_sub_f32_e32 v5, v12, v5
	v_add_f32_e32 v6, v10, v97
	v_add_u32_e32 v112, 0x70, v110
	v_fma_f32 v62, v12, 2.0, -v5
	v_fma_f32 v63, v10, 2.0, -v6
	v_lshl_add_u32 v96, v112, 4, 0
	v_sub_f32_e32 v93, v18, v68
	s_waitcnt vmcnt(4)
	v_sub_f32_e32 v10, v50, v20
	ds_write2_b64 v96, v[62:63], v[5:6] offset1:1
	v_sub_f32_e32 v98, v19, v69
	v_fma_f32 v12, v50, 2.0, -v10
	v_fma_f32 v5, v18, 2.0, -v93
	v_sub_f32_e32 v5, v12, v5
	v_add_f32_e32 v6, v10, v98
	v_add_u32_e32 v113, 0xa8, v110
	v_fma_f32 v62, v12, 2.0, -v5
	v_fma_f32 v63, v10, 2.0, -v6
	v_lshl_add_u32 v22, v113, 4, 0
	v_sub_f32_e32 v50, v26, v72
	s_waitcnt vmcnt(3)
	v_sub_f32_e32 v10, v46, v36
	ds_write2_b64 v22, v[62:63], v[5:6] offset1:1
	v_sub_f32_e32 v99, v27, v73
	v_fma_f32 v12, v46, 2.0, -v10
	;; [unrolled: 13-line block ×5, first 2 shown]
	v_fma_f32 v5, v24, 2.0, -v40
	v_sub_f32_e32 v5, v12, v5
	v_add_f32_e32 v6, v10, v48
	v_add_u32_e32 v88, 0x188, v110
	v_fma_f32 v60, v12, 2.0, -v5
	v_fma_f32 v61, v10, 2.0, -v6
	v_lshl_add_u32 v38, v88, 4, 0
	ds_write2_b64 v38, v[60:61], v[5:6] offset1:1
	v_sub_f32_e32 v34, v15, v71
	v_sub_f32_e32 v5, v8, v54
	v_lshl_add_u32 v89, v110, 4, 0
	v_sub_f32_e32 v44, v14, v70
	v_cmp_gt_u32_e32 vcc, 42, v110
	v_lshl_add_u32 v24, v90, 4, 0
	v_add_f32_e32 v6, v5, v34
	ds_write2_b64 v89, v[78:79], v[76:77] offset1:1
	s_and_saveexec_b64 s[2:3], vcc
	s_cbranch_execz .LBB0_17
; %bb.16:
	v_fma_f32 v61, v5, 2.0, -v6
	v_fma_f32 v8, v8, 2.0, -v5
	;; [unrolled: 1-line block ×3, first 2 shown]
	v_sub_f32_e32 v5, v8, v5
	v_fma_f32 v60, v8, 2.0, -v5
	ds_write2_b64 v24, v[60:61], v[5:6] offset1:1
.LBB0_17:
	s_or_b64 exec, exec, s[2:3]
	v_sub_f32_e32 v5, v57, v53
	v_fma_f32 v8, v57, 2.0, -v5
	v_fma_f32 v10, v59, 2.0, -v52
	v_sub_f32_e32 v104, v5, v0
	v_lshl_add_u32 v0, v110, 2, 0
	v_sub_f32_e32 v103, v8, v10
	v_fma_f32 v106, v5, 2.0, -v104
	s_waitcnt lgkmcnt(0)
	; wave barrier
	s_waitcnt lgkmcnt(0)
	v_add_u32_e32 v14, 0x200, v0
	v_add_u32_e32 v10, 0x800, v0
	v_add_u32_e32 v46, 0xc00, v0
	v_add_u32_e32 v18, 0x1000, v0
	v_add_u32_e32 v16, 0x1400, v0
	v_add_u32_e32 v12, 0x1800, v0
	v_add_u32_e32 v28, 0x400, v0
	v_add_u32_e32 v54, 0x1200, v0
	v_add_u32_e32 v102, 0x1c00, v0
	v_add_u32_e32 v20, 0xe00, v0
	ds_read_b32 v5, v0 offset:7616
	ds_read2_b32 v[58:59], v0 offset1:56
	ds_read2_b32 v[52:53], v14 offset0:96 offset1:152
	ds_read2_b32 v[86:87], v10 offset0:48 offset1:104
	;; [unrolled: 1-line block ×12, first 2 shown]
	ds_read2_b32 v[70:71], v102 offset1:56
	ds_read2_b32 v[68:69], v28 offset0:192 offset1:248
	ds_read2_b32 v[66:67], v20 offset0:112 offset1:168
	;; [unrolled: 1-line block ×3, first 2 shown]
	v_fma_f32 v105, v8, 2.0, -v103
	v_fma_f32 v8, v11, 2.0, -v95
	v_sub_f32_e32 v11, v17, v7
	v_fma_f32 v17, v17, 2.0, -v11
	v_sub_f32_e32 v7, v17, v8
	v_sub_f32_e32 v8, v11, v91
	s_waitcnt lgkmcnt(0)
	; wave barrier
	s_waitcnt lgkmcnt(0)
	ds_write2_b64 v89, v[105:106], v[103:104] offset1:1
	v_fma_f32 v103, v17, 2.0, -v7
	v_fma_f32 v104, v11, 2.0, -v8
	v_sub_f32_e32 v11, v13, v31
	ds_write2_b64 v92, v[103:104], v[7:8] offset1:1
	v_fma_f32 v7, v23, 2.0, -v97
	v_fma_f32 v13, v13, 2.0, -v11
	v_sub_f32_e32 v7, v13, v7
	v_sub_f32_e32 v8, v11, v94
	v_fma_f32 v91, v13, 2.0, -v7
	v_fma_f32 v92, v11, 2.0, -v8
	v_sub_f32_e32 v17, v51, v21
	ds_write2_b64 v96, v[91:92], v[7:8] offset1:1
	v_fma_f32 v7, v19, 2.0, -v98
	v_fma_f32 v19, v51, 2.0, -v17
	v_sub_f32_e32 v91, v19, v7
	v_sub_f32_e32 v7, v47, v37
	;; [unrolled: 1-line block ×4, first 2 shown]
	v_fma_f32 v8, v27, 2.0, -v99
	v_fma_f32 v94, v17, 2.0, -v92
	;; [unrolled: 1-line block ×4, first 2 shown]
	v_sub_f32_e32 v7, v43, v35
	v_fma_f32 v11, v39, 2.0, -v100
	v_sub_f32_e32 v95, v17, v8
	v_fma_f32 v8, v43, 2.0, -v7
	v_sub_f32_e32 v36, v7, v36
	v_sub_f32_e32 v35, v8, v11
	v_fma_f32 v98, v7, 2.0, -v36
	v_sub_f32_e32 v7, v49, v33
	v_fma_f32 v13, v41, 2.0, -v101
	v_fma_f32 v97, v8, 2.0, -v35
	;; [unrolled: 1-line block ×3, first 2 shown]
	v_sub_f32_e32 v42, v7, v42
	v_sub_f32_e32 v41, v8, v13
	v_fma_f32 v100, v7, 2.0, -v42
	v_sub_f32_e32 v7, v45, v29
	v_fma_f32 v99, v8, 2.0, -v41
	v_fma_f32 v8, v45, 2.0, -v7
	;; [unrolled: 1-line block ×3, first 2 shown]
	v_sub_f32_e32 v39, v8, v11
	v_sub_f32_e32 v11, v9, v55
	v_fma_f32 v93, v19, 2.0, -v91
	v_fma_f32 v47, v8, 2.0, -v39
	v_sub_f32_e32 v40, v7, v40
	v_sub_f32_e32 v8, v11, v44
	v_fma_f32 v50, v17, 2.0, -v95
	v_fma_f32 v48, v7, 2.0, -v40
	ds_write2_b64 v22, v[93:94], v[91:92] offset1:1
	ds_write2_b64 v26, v[50:51], v[95:96] offset1:1
	;; [unrolled: 1-line block ×5, first 2 shown]
	s_and_saveexec_b64 s[2:3], vcc
	s_cbranch_execz .LBB0_19
; %bb.18:
	v_fma_f32 v9, v9, 2.0, -v11
	v_fma_f32 v7, v15, 2.0, -v34
	v_sub_f32_e32 v7, v9, v7
	v_fma_f32 v21, v9, 2.0, -v7
	v_fma_f32 v22, v11, 2.0, -v8
	ds_write2_b64 v24, v[21:22], v[7:8] offset1:1
.LBB0_19:
	s_or_b64 exec, exec, s[2:3]
	v_and_b32_e32 v7, 3, v110
	v_mul_u32_u24_e32 v9, 6, v7
	v_lshlrev_b32_e32 v9, 3, v9
	s_waitcnt lgkmcnt(0)
	; wave barrier
	s_waitcnt lgkmcnt(0)
	global_load_dwordx4 v[21:24], v9, s[12:13]
	global_load_dwordx4 v[29:32], v9, s[12:13] offset:16
	global_load_dwordx4 v[36:39], v9, s[12:13] offset:32
	ds_read2_b32 v[44:45], v0 offset1:56
	ds_read2_b32 v[25:26], v14 offset0:96 offset1:152
	ds_read2_b32 v[40:41], v10 offset0:48 offset1:104
	;; [unrolled: 1-line block ×12, first 2 shown]
	ds_read2_b32 v[133:134], v102 offset1:56
	ds_read2_b32 v[135:136], v28 offset0:192 offset1:248
	ds_read2_b32 v[137:138], v20 offset0:112 offset1:168
	;; [unrolled: 1-line block ×3, first 2 shown]
	ds_read_b32 v9, v0 offset:7616
	s_mov_b32 s6, 0xbf5ff5aa
	s_mov_b32 s7, 0x3f3bfb3b
	;; [unrolled: 1-line block ×4, first 2 shown]
	s_waitcnt lgkmcnt(0)
	; wave barrier
	s_waitcnt lgkmcnt(0)
	v_cmp_gt_u32_e32 vcc, 28, v110
	s_waitcnt vmcnt(2)
	v_mul_f32_e32 v11, v53, v22
	v_mul_f32_e32 v48, v41, v24
	v_fma_f32 v121, v26, v21, -v11
	s_waitcnt vmcnt(1)
	v_mul_f32_e32 v11, v72, v32
	v_mul_f32_e32 v102, v87, v24
	;; [unrolled: 1-line block ×3, first 2 shown]
	v_fmac_f32_e32 v48, v87, v23
	v_fma_f32 v87, v131, v31, -v11
	s_waitcnt vmcnt(0)
	v_mul_f32_e32 v11, v77, v37
	v_mul_f32_e32 v50, v99, v32
	;; [unrolled: 1-line block ×3, first 2 shown]
	v_fma_f32 v103, v99, v31, -v103
	v_fma_f32 v99, v128, v36, -v11
	v_mul_f32_e32 v11, v70, v39
	v_mul_f32_e32 v97, v101, v39
	;; [unrolled: 1-line block ×3, first 2 shown]
	v_fma_f32 v104, v101, v38, -v104
	v_fma_f32 v101, v133, v38, -v11
	v_mul_f32_e32 v11, v68, v22
	v_mul_f32_e32 v17, v84, v32
	;; [unrolled: 1-line block ×4, first 2 shown]
	v_fmac_f32_e32 v91, v74, v23
	v_fma_f32 v74, v135, v21, -v11
	v_mul_f32_e32 v11, v75, v24
	v_mul_f32_e32 v92, v98, v32
	;; [unrolled: 1-line block ×4, first 2 shown]
	v_fma_f32 v109, v98, v31, -v17
	v_fmac_f32_e32 v95, v76, v36
	v_mul_f32_e32 v98, v128, v37
	v_fma_f32 v76, v130, v23, -v11
	v_mul_f32_e32 v11, v66, v30
	v_mul_f32_e32 v105, v78, v30
	v_fmac_f32_e32 v49, v78, v29
	v_fmac_f32_e32 v98, v77, v36
	v_fma_f32 v77, v137, v29, -v11
	v_mul_f32_e32 v78, v132, v32
	v_mul_f32_e32 v11, v73, v32
	;; [unrolled: 1-line block ×3, first 2 shown]
	v_fmac_f32_e32 v78, v73, v31
	v_fma_f32 v73, v132, v31, -v11
	v_mul_f32_e32 v11, v62, v37
	v_mul_f32_e32 v54, v40, v24
	;; [unrolled: 1-line block ×4, first 2 shown]
	v_fmac_f32_e32 v47, v80, v21
	v_fma_f32 v80, v139, v36, -v11
	v_mul_f32_e32 v11, v71, v39
	v_mul_f32_e32 v13, v86, v24
	;; [unrolled: 1-line block ×4, first 2 shown]
	v_fmac_f32_e32 v54, v86, v23
	v_fmac_f32_e32 v50, v85, v31
	;; [unrolled: 1-line block ×3, first 2 shown]
	v_mul_f32_e32 v85, v131, v32
	v_mul_f32_e32 v79, v139, v37
	v_fma_f32 v86, v134, v38, -v11
	v_mul_f32_e32 v11, v69, v22
	v_mul_f32_e32 v51, v26, v22
	v_mul_f32_e32 v55, v43, v30
	v_mul_f32_e32 v19, v61, v37
	v_mul_f32_e32 v27, v82, v39
	v_fmac_f32_e32 v94, v61, v36
	v_fmac_f32_e32 v85, v72, v31
	v_mul_f32_e32 v72, v130, v24
	v_fmac_f32_e32 v79, v62, v36
	v_fma_f32 v62, v136, v21, -v11
	v_mul_f32_e32 v61, v42, v24
	v_mul_f32_e32 v11, v64, v24
	;; [unrolled: 1-line block ×4, first 2 shown]
	v_fma_f32 v119, v100, v38, -v27
	v_fmac_f32_e32 v51, v53, v21
	v_fmac_f32_e32 v55, v65, v29
	v_mul_f32_e32 v100, v133, v39
	v_fmac_f32_e32 v72, v75, v23
	v_mul_f32_e32 v75, v137, v30
	v_mul_f32_e32 v53, v136, v22
	v_fmac_f32_e32 v61, v64, v23
	v_fma_f32 v65, v42, v23, -v11
	v_mul_f32_e32 v64, v138, v30
	v_mul_f32_e32 v11, v67, v30
	;; [unrolled: 1-line block ×3, first 2 shown]
	v_fmac_f32_e32 v100, v70, v38
	v_mul_f32_e32 v70, v135, v22
	v_fmac_f32_e32 v75, v66, v29
	v_fmac_f32_e32 v53, v69, v21
	v_fmac_f32_e32 v64, v67, v29
	v_fma_f32 v66, v138, v29, -v11
	v_mul_f32_e32 v67, v117, v32
	v_mul_f32_e32 v11, v60, v32
	;; [unrolled: 1-line block ×4, first 2 shown]
	v_fmac_f32_e32 v96, v82, v38
	v_fmac_f32_e32 v89, v81, v21
	;; [unrolled: 1-line block ×3, first 2 shown]
	v_mul_f32_e32 v81, v134, v39
	v_fmac_f32_e32 v67, v60, v31
	v_fma_f32 v60, v117, v31, -v11
	v_mul_f32_e32 v68, v140, v37
	v_mul_f32_e32 v11, v63, v37
	v_fmac_f32_e32 v69, v5, v38
	v_mul_f32_e32 v5, v5, v39
	v_fmac_f32_e32 v92, v84, v31
	v_fmac_f32_e32 v81, v71, v38
	;; [unrolled: 1-line block ×3, first 2 shown]
	v_fma_f32 v63, v140, v36, -v11
	v_fma_f32 v71, v9, v38, -v5
	v_add_f32_e32 v5, v51, v96
	v_add_f32_e32 v11, v54, v94
	v_fma_f32 v108, v40, v23, -v13
	v_fma_f32 v120, v43, v29, -v15
	;; [unrolled: 1-line block ×3, first 2 shown]
	v_add_f32_e32 v15, v55, v92
	v_add_f32_e32 v19, v11, v5
	v_fma_f32 v106, v123, v21, -v33
	v_fma_f32 v82, v124, v21, -v141
	v_sub_f32_e32 v13, v108, v122
	v_sub_f32_e32 v17, v109, v120
	;; [unrolled: 1-line block ×5, first 2 shown]
	v_add_f32_e32 v15, v15, v19
	v_fma_f32 v102, v41, v23, -v102
	v_fmac_f32_e32 v97, v83, v38
	v_fma_f32 v83, v129, v23, -v142
	v_sub_f32_e32 v9, v121, v119
	v_add_f32_e32 v22, v17, v13
	v_sub_f32_e32 v23, v17, v13
	v_add_f32_e32 v19, v58, v15
	v_sub_f32_e32 v17, v9, v17
	v_sub_f32_e32 v13, v13, v9
	v_add_f32_e32 v9, v22, v9
	v_mul_f32_e32 v5, 0x3f4a47b2, v5
	v_mul_f32_e32 v22, 0x3d64c772, v11
	;; [unrolled: 1-line block ×3, first 2 shown]
	v_mov_b32_e32 v26, v19
	v_mul_f32_e32 v24, 0xbf5ff5aa, v13
	v_fmac_f32_e32 v26, 0xbf955555, v15
	v_fma_f32 v15, v21, s7, -v22
	v_fma_f32 v21, v21, s8, -v5
	v_fmac_f32_e32 v5, 0x3d64c772, v11
	v_fma_f32 v11, v13, s6, -v23
	v_fmac_f32_e32 v23, 0xbeae86e6, v17
	v_fma_f32 v13, v17, s9, -v24
	v_add_f32_e32 v5, v5, v26
	v_add_f32_e32 v15, v15, v26
	v_fmac_f32_e32 v23, 0xbee1c552, v9
	v_fmac_f32_e32 v11, 0xbee1c552, v9
	;; [unrolled: 1-line block ×3, first 2 shown]
	v_add_f32_e32 v9, v23, v5
	v_sub_f32_e32 v22, v15, v11
	v_add_f32_e32 v11, v11, v15
	v_sub_f32_e32 v15, v5, v23
	v_add_f32_e32 v5, v47, v97
	v_add_f32_e32 v23, v48, v95
	v_fma_f32 v105, v125, v29, -v105
	v_fma_f32 v107, v127, v36, -v107
	v_fma_f32 v84, v126, v29, -v143
	v_add_f32_e32 v17, v21, v26
	v_add_f32_e32 v26, v49, v50
	;; [unrolled: 1-line block ×3, first 2 shown]
	v_sub_f32_e32 v24, v102, v107
	v_sub_f32_e32 v27, v103, v105
	;; [unrolled: 1-line block ×5, first 2 shown]
	v_add_f32_e32 v26, v26, v29
	v_add_f32_e32 v21, v13, v17
	v_sub_f32_e32 v13, v17, v13
	v_sub_f32_e32 v17, v106, v104
	v_add_f32_e32 v31, v27, v24
	v_sub_f32_e32 v32, v27, v24
	v_add_f32_e32 v29, v59, v26
	v_sub_f32_e32 v27, v17, v27
	v_sub_f32_e32 v24, v24, v17
	v_add_f32_e32 v17, v31, v17
	v_mul_f32_e32 v5, 0x3f4a47b2, v5
	v_mul_f32_e32 v31, 0x3d64c772, v23
	;; [unrolled: 1-line block ×3, first 2 shown]
	v_mov_b32_e32 v36, v29
	v_mul_f32_e32 v33, 0xbf5ff5aa, v24
	v_fmac_f32_e32 v36, 0xbf955555, v26
	v_fma_f32 v26, v30, s7, -v31
	v_fma_f32 v30, v30, s8, -v5
	v_fmac_f32_e32 v5, 0x3d64c772, v23
	v_fma_f32 v23, v24, s6, -v32
	v_fmac_f32_e32 v32, 0xbeae86e6, v27
	v_fma_f32 v24, v27, s9, -v33
	v_add_f32_e32 v5, v5, v36
	v_add_f32_e32 v26, v26, v36
	v_fmac_f32_e32 v32, 0xbee1c552, v17
	v_fmac_f32_e32 v23, 0xbee1c552, v17
	;; [unrolled: 1-line block ×3, first 2 shown]
	v_add_f32_e32 v17, v32, v5
	v_sub_f32_e32 v31, v26, v23
	v_add_f32_e32 v23, v23, v26
	v_sub_f32_e32 v26, v5, v32
	v_add_f32_e32 v5, v89, v100
	v_add_f32_e32 v32, v91, v98
	v_add_f32_e32 v27, v30, v36
	v_add_f32_e32 v36, v93, v85
	v_add_f32_e32 v38, v32, v5
	v_sub_f32_e32 v33, v83, v99
	v_sub_f32_e32 v37, v87, v84
	v_sub_f32_e32 v39, v32, v5
	v_sub_f32_e32 v5, v5, v36
	v_sub_f32_e32 v32, v36, v32
	v_add_f32_e32 v36, v36, v38
	v_add_f32_e32 v30, v24, v27
	v_sub_f32_e32 v24, v27, v24
	v_sub_f32_e32 v27, v82, v101
	v_add_f32_e32 v40, v37, v33
	v_sub_f32_e32 v41, v37, v33
	v_add_f32_e32 v38, v56, v36
	v_sub_f32_e32 v37, v27, v37
	v_sub_f32_e32 v33, v33, v27
	v_add_f32_e32 v27, v40, v27
	v_mul_f32_e32 v5, 0x3f4a47b2, v5
	v_mul_f32_e32 v40, 0x3d64c772, v32
	;; [unrolled: 1-line block ×3, first 2 shown]
	v_mov_b32_e32 v43, v38
	v_mul_f32_e32 v42, 0xbf5ff5aa, v33
	v_fmac_f32_e32 v43, 0xbf955555, v36
	v_fma_f32 v36, v39, s7, -v40
	v_fma_f32 v39, v39, s8, -v5
	v_fmac_f32_e32 v5, 0x3d64c772, v32
	v_fma_f32 v32, v33, s6, -v41
	v_fmac_f32_e32 v41, 0xbeae86e6, v37
	v_fma_f32 v33, v37, s9, -v42
	v_add_f32_e32 v5, v5, v43
	v_add_f32_e32 v36, v36, v43
	v_fmac_f32_e32 v41, 0xbee1c552, v27
	v_fmac_f32_e32 v32, 0xbee1c552, v27
	v_fmac_f32_e32 v33, 0xbee1c552, v27
	v_add_f32_e32 v27, v41, v5
	v_sub_f32_e32 v40, v36, v32
	v_add_f32_e32 v32, v32, v36
	v_sub_f32_e32 v36, v5, v41
	v_add_f32_e32 v5, v70, v81
	v_add_f32_e32 v41, v72, v79
	;; [unrolled: 1-line block ×3, first 2 shown]
	v_sub_f32_e32 v42, v76, v80
	v_add_f32_e32 v43, v75, v78
	v_sub_f32_e32 v56, v73, v77
	v_add_f32_e32 v58, v41, v5
	v_add_f32_e32 v39, v33, v37
	v_sub_f32_e32 v33, v37, v33
	v_sub_f32_e32 v37, v74, v86
	;; [unrolled: 1-line block ×5, first 2 shown]
	v_add_f32_e32 v117, v56, v42
	v_add_f32_e32 v43, v43, v58
	v_sub_f32_e32 v118, v56, v42
	v_sub_f32_e32 v56, v37, v56
	;; [unrolled: 1-line block ×3, first 2 shown]
	v_add_f32_e32 v37, v117, v37
	v_add_f32_e32 v117, v57, v43
	v_mul_f32_e32 v5, 0x3f4a47b2, v5
	v_mul_f32_e32 v57, 0x3d64c772, v41
	;; [unrolled: 1-line block ×4, first 2 shown]
	v_mov_b32_e32 v123, v117
	v_fmac_f32_e32 v123, 0xbf955555, v43
	v_fma_f32 v43, v59, s7, -v57
	v_fma_f32 v57, v59, s8, -v5
	v_fmac_f32_e32 v5, 0x3d64c772, v41
	v_fma_f32 v41, v42, s6, -v58
	v_fma_f32 v42, v56, s9, -v118
	v_fmac_f32_e32 v58, 0xbeae86e6, v56
	v_add_f32_e32 v56, v57, v123
	v_fmac_f32_e32 v42, 0xbee1c552, v37
	v_add_f32_e32 v59, v42, v56
	v_sub_f32_e32 v42, v56, v42
	v_lshrrev_b32_e32 v56, 2, v110
	v_mul_u32_u24_e32 v56, 28, v56
	v_add_f32_e32 v5, v5, v123
	v_add_f32_e32 v43, v43, v123
	v_fmac_f32_e32 v58, 0xbee1c552, v37
	v_fmac_f32_e32 v41, 0xbee1c552, v37
	v_or_b32_e32 v56, v56, v7
	v_add_f32_e32 v37, v58, v5
	v_sub_f32_e32 v118, v43, v41
	v_add_f32_e32 v41, v41, v43
	v_sub_f32_e32 v43, v5, v58
	v_add_f32_e32 v5, v53, v69
	v_add_f32_e32 v58, v61, v68
	v_lshl_add_u32 v56, v56, 2, 0
	v_add_f32_e32 v123, v64, v67
	ds_write2_b32 v56, v19, v9 offset1:4
	v_add_f32_e32 v9, v58, v5
	v_sub_f32_e32 v19, v58, v5
	v_sub_f32_e32 v5, v5, v123
	v_sub_f32_e32 v58, v123, v58
	v_add_f32_e32 v9, v123, v9
	v_sub_f32_e32 v123, v65, v63
	v_sub_f32_e32 v124, v60, v66
	v_sub_f32_e32 v57, v62, v71
	;; [unrolled: 4-line block ×3, first 2 shown]
	v_add_f32_e32 v57, v125, v57
	v_add_f32_e32 v125, v52, v9
	v_mov_b32_e32 v52, v125
	ds_write2_b32 v56, v21, v22 offset0:8 offset1:12
	ds_write2_b32 v56, v11, v13 offset0:16 offset1:20
	ds_write_b32 v56, v15 offset:96
	v_lshrrev_b32_e32 v11, 2, v111
	v_fmac_f32_e32 v52, 0xbf955555, v9
	v_mul_f32_e32 v5, 0x3f4a47b2, v5
	v_mul_f32_e32 v9, 0x3d64c772, v58
	v_mul_u32_u24_e32 v11, 28, v11
	v_fma_f32 v9, v19, s7, -v9
	v_fma_f32 v19, v19, s8, -v5
	v_fmac_f32_e32 v5, 0x3d64c772, v58
	v_or_b32_e32 v11, v11, v7
	v_add_f32_e32 v5, v5, v52
	v_add_f32_e32 v9, v9, v52
	;; [unrolled: 1-line block ×3, first 2 shown]
	v_lshl_add_u32 v52, v11, 2, 0
	v_lshrrev_b32_e32 v11, 2, v112
	v_mul_f32_e32 v58, 0x3f08b237, v126
	v_mul_f32_e32 v126, 0xbf5ff5aa, v123
	v_mul_u32_u24_e32 v11, 28, v11
	v_fma_f32 v123, v123, s6, -v58
	v_fmac_f32_e32 v58, 0xbeae86e6, v124
	v_fma_f32 v124, v124, s9, -v126
	v_or_b32_e32 v11, v11, v7
	v_fmac_f32_e32 v58, 0xbee1c552, v57
	v_fmac_f32_e32 v123, 0xbee1c552, v57
	v_fmac_f32_e32 v124, 0xbee1c552, v57
	v_lshl_add_u32 v57, v11, 2, 0
	v_lshrrev_b32_e32 v11, 2, v113
	v_mul_u32_u24_e32 v11, 28, v11
	v_or_b32_e32 v11, v11, v7
	v_add_f32_e32 v127, v124, v19
	v_sub_f32_e32 v19, v19, v124
	v_add_f32_e32 v124, v58, v5
	v_sub_f32_e32 v5, v5, v58
	v_lshl_add_u32 v58, v11, 2, 0
	v_lshrrev_b32_e32 v11, 2, v114
	v_mul_u32_u24_e32 v11, 28, v11
	v_or_b32_e32 v7, v11, v7
	v_sub_f32_e32 v126, v9, v123
	v_add_f32_e32 v9, v123, v9
	v_lshl_add_u32 v123, v7, 2, 0
	ds_write2_b32 v52, v29, v17 offset1:4
	ds_write2_b32 v52, v30, v31 offset0:8 offset1:12
	ds_write2_b32 v52, v23, v24 offset0:16 offset1:20
	ds_write_b32 v52, v26 offset:96
	ds_write2_b32 v57, v38, v27 offset1:4
	ds_write2_b32 v57, v39, v40 offset0:8 offset1:12
	ds_write2_b32 v57, v32, v33 offset0:16 offset1:20
	ds_write_b32 v57, v36 offset:96
	;; [unrolled: 4-line block ×4, first 2 shown]
	s_waitcnt lgkmcnt(0)
	; wave barrier
	s_waitcnt lgkmcnt(0)
	ds_read2_b32 v[42:43], v0 offset1:56
	ds_read2_b32 v[23:24], v20 offset0:84 offset1:140
	ds_read2_b32 v[40:41], v0 offset0:112 offset1:168
	;; [unrolled: 1-line block ×7, first 2 shown]
	v_add_u32_e32 v124, 0x600, v0
	v_add_u32_e32 v59, 0xa00, v0
	;; [unrolled: 1-line block ×3, first 2 shown]
	v_lshl_add_u32 v117, v90, 2, 0
	ds_read2_b32 v[15:16], v16 offset0:148 offset1:204
	ds_read2_b32 v[32:33], v124 offset0:120 offset1:176
	;; [unrolled: 1-line block ×8, first 2 shown]
	ds_read_b32 v118, v117
	ds_read_b32 v7, v0 offset:7504
	s_and_saveexec_b64 s[2:3], vcc
	s_cbranch_execz .LBB0_21
; %bb.20:
	ds_read_b32 v5, v0 offset:3808
	ds_read_b32 v6, v0 offset:7728
.LBB0_21:
	s_or_b64 exec, exec, s[2:3]
	v_add_f32_e32 v46, v121, v119
	v_sub_f32_e32 v51, v51, v96
	v_add_f32_e32 v96, v108, v122
	v_sub_f32_e32 v54, v54, v94
	;; [unrolled: 2-line block ×3, first 2 shown]
	v_add_f32_e32 v92, v96, v46
	v_add_f32_e32 v92, v94, v92
	v_sub_f32_e32 v108, v96, v46
	v_sub_f32_e32 v46, v46, v94
	;; [unrolled: 1-line block ×3, first 2 shown]
	v_add_f32_e32 v109, v55, v54
	v_sub_f32_e32 v119, v55, v54
	v_sub_f32_e32 v54, v54, v51
	v_add_f32_e32 v44, v44, v92
	v_sub_f32_e32 v55, v51, v55
	v_add_f32_e32 v51, v109, v51
	v_mul_f32_e32 v46, 0x3f4a47b2, v46
	v_mul_f32_e32 v94, 0x3d64c772, v96
	;; [unrolled: 1-line block ×4, first 2 shown]
	v_mov_b32_e32 v120, v44
	v_fmac_f32_e32 v120, 0xbf955555, v92
	v_fma_f32 v92, v108, s7, -v94
	v_fma_f32 v94, v108, s8, -v46
	;; [unrolled: 1-line block ×3, first 2 shown]
	v_fmac_f32_e32 v109, 0xbeae86e6, v55
	v_fma_f32 v55, v55, s9, -v119
	v_add_f32_e32 v92, v92, v120
	v_add_f32_e32 v94, v94, v120
	v_fmac_f32_e32 v54, 0xbee1c552, v51
	v_fmac_f32_e32 v55, 0xbee1c552, v51
	;; [unrolled: 1-line block ×3, first 2 shown]
	v_sub_f32_e32 v96, v94, v55
	v_add_f32_e32 v108, v54, v92
	v_sub_f32_e32 v54, v92, v54
	v_add_f32_e32 v55, v55, v94
	v_add_f32_e32 v92, v106, v104
	;; [unrolled: 1-line block ×3, first 2 shown]
	v_sub_f32_e32 v48, v48, v95
	v_add_f32_e32 v95, v105, v103
	v_sub_f32_e32 v49, v50, v49
	v_add_f32_e32 v50, v94, v92
	v_add_f32_e32 v50, v95, v50
	v_sub_f32_e32 v47, v47, v97
	v_sub_f32_e32 v97, v94, v92
	;; [unrolled: 1-line block ×4, first 2 shown]
	v_add_f32_e32 v102, v49, v48
	v_sub_f32_e32 v103, v49, v48
	v_add_f32_e32 v45, v45, v50
	v_sub_f32_e32 v49, v47, v49
	v_sub_f32_e32 v48, v48, v47
	v_add_f32_e32 v47, v102, v47
	v_mul_f32_e32 v92, 0x3f4a47b2, v92
	v_mul_f32_e32 v95, 0x3d64c772, v94
	;; [unrolled: 1-line block ×3, first 2 shown]
	v_mov_b32_e32 v104, v45
	v_mul_f32_e32 v103, 0xbf5ff5aa, v48
	v_fmac_f32_e32 v104, 0xbf955555, v50
	v_fma_f32 v50, v97, s7, -v95
	v_fma_f32 v95, v97, s8, -v92
	v_fmac_f32_e32 v92, 0x3d64c772, v94
	v_fma_f32 v48, v48, s6, -v102
	v_fmac_f32_e32 v102, 0xbeae86e6, v49
	v_add_f32_e32 v82, v82, v101
	v_add_f32_e32 v83, v83, v99
	;; [unrolled: 1-line block ×6, first 2 shown]
	v_fma_f32 v49, v49, s9, -v103
	v_add_f32_e32 v92, v92, v104
	v_add_f32_e32 v50, v50, v104
	v_fmac_f32_e32 v102, 0xbee1c552, v47
	v_fmac_f32_e32 v48, 0xbee1c552, v47
	v_add_f32_e32 v84, v84, v87
	v_add_f32_e32 v87, v83, v82
	;; [unrolled: 1-line block ×7, first 2 shown]
	v_fmac_f32_e32 v49, 0xbee1c552, v47
	v_sub_f32_e32 v47, v92, v102
	v_add_f32_e32 v97, v48, v50
	v_sub_f32_e32 v48, v50, v48
	v_add_f32_e32 v50, v102, v92
	v_sub_f32_e32 v89, v89, v100
	v_sub_f32_e32 v91, v91, v98
	v_sub_f32_e32 v85, v85, v93
	v_sub_f32_e32 v92, v83, v82
	v_sub_f32_e32 v82, v82, v84
	v_sub_f32_e32 v83, v84, v83
	v_add_f32_e32 v84, v84, v87
	v_sub_f32_e32 v70, v70, v81
	v_sub_f32_e32 v72, v72, v79
	v_sub_f32_e32 v75, v78, v75
	v_sub_f32_e32 v78, v76, v74
	v_sub_f32_e32 v74, v74, v73
	;; [unrolled: 7-line block ×3, first 2 shown]
	v_sub_f32_e32 v63, v60, v63
	v_add_f32_e32 v60, v60, v65
	v_sub_f32_e32 v95, v94, v49
	v_add_f32_e32 v49, v49, v94
	v_add_f32_e32 v93, v85, v91
	v_sub_f32_e32 v94, v85, v91
	v_sub_f32_e32 v91, v91, v89
	v_add_f32_e32 v34, v34, v84
	v_add_f32_e32 v79, v75, v72
	v_sub_f32_e32 v80, v75, v72
	;; [unrolled: 4-line block ×3, first 2 shown]
	v_sub_f32_e32 v61, v61, v53
	v_add_f32_e32 v25, v25, v60
	v_sub_f32_e32 v85, v89, v85
	v_add_f32_e32 v87, v93, v89
	v_mul_f32_e32 v82, 0x3f4a47b2, v82
	v_mul_f32_e32 v89, 0x3d64c772, v83
	v_mul_f32_e32 v93, 0x3f08b237, v94
	v_mul_f32_e32 v94, 0xbf5ff5aa, v91
	v_mov_b32_e32 v98, v34
	v_sub_f32_e32 v75, v70, v75
	v_add_f32_e32 v70, v79, v70
	v_mul_f32_e32 v74, 0x3f4a47b2, v74
	v_mul_f32_e32 v77, 0x3d64c772, v76
	v_mul_f32_e32 v79, 0x3f08b237, v80
	v_mul_f32_e32 v80, 0xbf5ff5aa, v72
	v_mov_b32_e32 v81, v35
	;; [unrolled: 7-line block ×3, first 2 shown]
	v_add_f32_e32 v46, v46, v120
	v_fmac_f32_e32 v109, 0xbee1c552, v51
	v_fmac_f32_e32 v98, 0xbf955555, v84
	v_fma_f32 v84, v92, s7, -v89
	v_fma_f32 v89, v92, s8, -v82
	v_fmac_f32_e32 v82, 0x3d64c772, v83
	v_fma_f32 v83, v91, s6, -v93
	v_fmac_f32_e32 v93, 0xbeae86e6, v85
	v_fma_f32 v85, v85, s9, -v94
	v_fmac_f32_e32 v81, 0xbf955555, v73
	v_fma_f32 v73, v78, s7, -v77
	v_fma_f32 v77, v78, s8, -v74
	v_fmac_f32_e32 v74, 0x3d64c772, v76
	v_fma_f32 v72, v72, s6, -v79
	v_fmac_f32_e32 v79, 0xbeae86e6, v75
	v_fma_f32 v75, v75, s9, -v80
	;; [unrolled: 7-line block ×3, first 2 shown]
	v_sub_f32_e32 v51, v46, v109
	v_add_f32_e32 v82, v82, v98
	v_add_f32_e32 v84, v84, v98
	v_add_f32_e32 v89, v89, v98
	v_fmac_f32_e32 v93, 0xbee1c552, v87
	v_fmac_f32_e32 v83, 0xbee1c552, v87
	v_fmac_f32_e32 v85, 0xbee1c552, v87
	v_add_f32_e32 v74, v74, v81
	v_add_f32_e32 v73, v73, v81
	v_add_f32_e32 v76, v77, v81
	v_fmac_f32_e32 v79, 0xbee1c552, v70
	v_fmac_f32_e32 v72, 0xbee1c552, v70
	v_fmac_f32_e32 v75, 0xbee1c552, v70
	;; [unrolled: 6-line block ×3, first 2 shown]
	v_add_f32_e32 v46, v109, v46
	v_sub_f32_e32 v87, v82, v93
	v_sub_f32_e32 v91, v89, v85
	v_add_f32_e32 v92, v83, v84
	v_sub_f32_e32 v83, v84, v83
	v_add_f32_e32 v84, v85, v89
	v_add_f32_e32 v82, v93, v82
	v_sub_f32_e32 v70, v74, v79
	v_sub_f32_e32 v77, v76, v75
	v_add_f32_e32 v78, v72, v73
	v_sub_f32_e32 v72, v73, v72
	v_add_f32_e32 v73, v75, v76
	;; [unrolled: 6-line block ×3, first 2 shown]
	v_add_f32_e32 v119, v67, v62
	s_waitcnt lgkmcnt(0)
	; wave barrier
	s_waitcnt lgkmcnt(0)
	ds_write2_b32 v56, v44, v51 offset1:4
	ds_write2_b32 v56, v96, v108 offset0:8 offset1:12
	ds_write2_b32 v56, v54, v55 offset0:16 offset1:20
	ds_write_b32 v56, v46 offset:96
	ds_write2_b32 v52, v45, v47 offset1:4
	ds_write2_b32 v52, v95, v97 offset0:8 offset1:12
	ds_write2_b32 v52, v48, v49 offset0:16 offset1:20
	ds_write_b32 v52, v50 offset:96
	;; [unrolled: 4-line block ×5, first 2 shown]
	v_add_u32_e32 v25, 0xe00, v0
	s_waitcnt lgkmcnt(0)
	; wave barrier
	s_waitcnt lgkmcnt(0)
	ds_read2_b32 v[56:57], v0 offset1:56
	ds_read2_b32 v[72:73], v25 offset0:84 offset1:140
	ds_read2_b32 v[52:53], v0 offset0:112 offset1:168
	v_add_u32_e32 v25, 0x1000, v0
	v_add_u32_e32 v34, 0x200, v0
	ds_read2_b32 v[70:71], v25 offset0:68 offset1:124
	ds_read2_b32 v[54:55], v34 offset0:96 offset1:152
	;; [unrolled: 1-line block ×3, first 2 shown]
	v_add_u32_e32 v25, 0x400, v0
	ds_read2_b32 v[50:51], v25 offset0:80 offset1:136
	v_add_u32_e32 v25, 0x1400, v0
	ds_read2_b32 v[68:69], v25 offset0:36 offset1:92
	ds_read2_b32 v[64:65], v25 offset0:148 offset1:204
	;; [unrolled: 1-line block ×3, first 2 shown]
	v_add_u32_e32 v25, 0x1800, v0
	v_add_u32_e32 v34, 0x800, v0
	ds_read2_b32 v[62:63], v25 offset0:4 offset1:60
	ds_read2_b32 v[48:49], v34 offset0:104 offset1:160
	;; [unrolled: 1-line block ×5, first 2 shown]
	v_add_u32_e32 v25, 0xc00, v0
	ds_read2_b32 v[34:35], v25 offset0:72 offset1:128
	ds_read_b32 v25, v117
	ds_read_b32 v120, v0 offset:7504
	s_and_saveexec_b64 s[2:3], vcc
	s_cbranch_execz .LBB0_23
; %bb.22:
	ds_read_b32 v119, v0 offset:3808
	ds_read_b32 v8, v0 offset:7728
.LBB0_23:
	s_or_b64 exec, exec, s[2:3]
	v_subrev_u32_e32 v74, 28, v110
	v_cndmask_b32_e32 v91, v74, v110, vcc
	v_mov_b32_e32 v92, 0
	v_lshlrev_b64 v[74:75], 3, v[91:92]
	v_mov_b32_e32 v76, s13
	v_add_co_u32_e64 v82, s[2:3], s12, v74
	v_addc_co_u32_e64 v83, s[2:3], v76, v75, s[2:3]
	v_lshrrev_b16_e32 v74, 2, v111
	v_lshrrev_b16_e32 v76, 2, v112
	v_and_b32_e32 v74, 63, v74
	v_and_b32_e32 v76, 63, v76
	v_mul_lo_u16_e32 v122, 37, v74
	v_mov_b32_e32 v74, 28
	v_mul_lo_u16_e32 v124, 37, v76
	v_mul_lo_u16_sdwa v76, v124, v74 dst_sel:DWORD dst_unused:UNUSED_PAD src0_sel:BYTE_1 src1_sel:DWORD
	v_sub_u16_e32 v125, v112, v76
	v_lshrrev_b16_e32 v76, 2, v113
	v_and_b32_e32 v76, 63, v76
	v_mul_lo_u16_e32 v126, 37, v76
	v_mul_lo_u16_sdwa v75, v122, v74 dst_sel:DWORD dst_unused:UNUSED_PAD src0_sel:BYTE_1 src1_sel:DWORD
	v_mul_lo_u16_sdwa v74, v126, v74 dst_sel:DWORD dst_unused:UNUSED_PAD src0_sel:BYTE_1 src1_sel:DWORD
	v_sub_u16_e32 v123, v111, v75
	v_mov_b32_e32 v75, 3
	v_sub_u16_e32 v127, v113, v74
	v_lshlrev_b32_sdwa v84, v75, v123 dst_sel:DWORD dst_unused:UNUSED_PAD src0_sel:DWORD src1_sel:BYTE_0
	v_lshlrev_b32_sdwa v85, v75, v125 dst_sel:DWORD dst_unused:UNUSED_PAD src0_sel:DWORD src1_sel:BYTE_0
	;; [unrolled: 1-line block ×3, first 2 shown]
	global_load_dwordx2 v[80:81], v[82:83], off offset:192
	global_load_dwordx2 v[78:79], v84, s[12:13] offset:192
	global_load_dwordx2 v[76:77], v85, s[12:13] offset:192
	;; [unrolled: 1-line block ×3, first 2 shown]
	v_lshrrev_b16_e32 v82, 2, v114
	v_mul_u32_u24_e32 v82, 0x4925, v82
	v_lshrrev_b32_e32 v128, 17, v82
	v_mul_lo_u16_e32 v82, 28, v128
	v_sub_u16_e32 v129, v114, v82
	v_lshrrev_b16_e32 v82, 2, v115
	v_mul_u32_u24_e32 v82, 0x4925, v82
	v_lshrrev_b32_e32 v130, 17, v82
	v_mul_lo_u16_e32 v82, 28, v130
	v_sub_u16_e32 v131, v115, v82
	v_lshrrev_b16_e32 v82, 2, v116
	v_mul_u32_u24_e32 v82, 0x4925, v82
	v_lshrrev_b32_e32 v132, 17, v82
	v_mul_lo_u16_e32 v82, 28, v132
	v_sub_u16_e32 v133, v116, v82
	v_lshrrev_b16_e32 v82, 2, v88
	v_mul_u32_u24_e32 v82, 0x4925, v82
	v_lshrrev_b32_e32 v134, 17, v82
	v_mul_lo_u16_e32 v82, 28, v134
	v_lshlrev_b32_e32 v92, 3, v129
	v_sub_u16_e32 v135, v88, v82
	v_lshlrev_b32_e32 v93, 3, v131
	v_lshlrev_b32_e32 v94, 3, v133
	;; [unrolled: 1-line block ×3, first 2 shown]
	global_load_dwordx2 v[88:89], v92, s[12:13] offset:192
	global_load_dwordx2 v[86:87], v93, s[12:13] offset:192
	;; [unrolled: 1-line block ×4, first 2 shown]
	v_lshrrev_b16_e32 v92, 2, v90
	v_mul_u32_u24_e32 v92, 0x4925, v92
	v_lshrrev_b32_e32 v136, 17, v92
	v_mul_lo_u16_e32 v92, 28, v136
	v_sub_u16_e32 v137, v90, v92
	v_add_u16_e32 v92, 0x1f8, v110
	v_lshrrev_b16_e32 v93, 2, v92
	v_mul_u32_u24_e32 v93, 0x4925, v93
	v_lshrrev_b32_e32 v138, 17, v93
	v_mul_lo_u16_e32 v93, 28, v138
	v_sub_u16_e32 v139, v92, v93
	v_add_u16_e32 v93, 0x230, v110
	;; [unrolled: 6-line block ×7, first 2 shown]
	v_lshrrev_b16_e32 v95, 2, v94
	v_mul_u32_u24_e32 v95, 0x4925, v95
	v_lshrrev_b32_e32 v150, 17, v95
	v_mul_lo_u16_e32 v95, 28, v150
	v_sub_u16_e32 v151, v94, v95
	v_or_b32_e32 v94, 0x380, v110
	v_lshrrev_b16_e32 v95, 2, v94
	v_mul_u32_u24_e32 v95, 0x4925, v95
	v_lshrrev_b32_e32 v152, 17, v95
	v_mul_lo_u16_e32 v95, 28, v152
	v_sub_u16_e32 v153, v94, v95
	v_add_u16_e32 v94, 0x3b8, v110
	v_lshrrev_b16_e32 v95, 2, v94
	v_mul_u32_u24_e32 v95, 0x4925, v95
	v_lshrrev_b32_e32 v95, 17, v95
	v_lshlrev_b32_e32 v90, 3, v137
	v_lshlrev_b32_e32 v92, 3, v139
	;; [unrolled: 1-line block ×3, first 2 shown]
	v_mul_lo_u16_e32 v95, 28, v95
	v_lshlrev_b32_e32 v100, 3, v143
	v_sub_u16_e32 v154, v94, v95
	global_load_dwordx2 v[98:99], v90, s[12:13] offset:192
	global_load_dwordx2 v[96:97], v92, s[12:13] offset:192
	;; [unrolled: 1-line block ×3, first 2 shown]
	s_nop 0
	global_load_dwordx2 v[92:93], v100, s[12:13] offset:192
	v_lshlrev_b32_e32 v90, 2, v91
	v_mov_b32_e32 v91, 0xe0
	v_cmp_lt_u32_e64 s[2:3], 27, v110
	v_cndmask_b32_e64 v91, 0, v91, s[2:3]
	v_add3_u32 v121, 0, v91, v90
	s_waitcnt vmcnt(11) lgkmcnt(14)
	v_mul_f32_e32 v90, v72, v81
	v_fmac_f32_e32 v90, v23, v80
	v_sub_f32_e32 v155, v42, v90
	v_lshlrev_b32_e32 v90, 3, v145
	v_lshlrev_b32_e32 v100, 3, v149
	;; [unrolled: 1-line block ×4, first 2 shown]
	global_load_dwordx2 v[108:109], v90, s[12:13] offset:192
	global_load_dwordx2 v[104:105], v91, s[12:13] offset:192
	;; [unrolled: 1-line block ×3, first 2 shown]
	s_nop 0
	global_load_dwordx2 v[100:101], v101, s[12:13] offset:192
	v_lshlrev_b32_e32 v90, 3, v153
	v_lshlrev_b32_e32 v91, 3, v154
	global_load_dwordx2 v[106:107], v90, s[12:13] offset:192
	s_nop 0
	global_load_dwordx2 v[90:91], v91, s[12:13] offset:192
	v_fma_f32 v42, v42, 2.0, -v155
	s_waitcnt lgkmcnt(0)
	; wave barrier
	s_waitcnt lgkmcnt(0)
	ds_write2_b32 v121, v42, v155 offset1:28
	s_waitcnt vmcnt(16)
	v_mul_f32_e32 v42, v73, v79
	v_fmac_f32_e32 v42, v24, v78
	s_movk_i32 s2, 0xe0
	v_mov_b32_e32 v155, 2
	v_sub_f32_e32 v42, v43, v42
	v_mul_u32_u24_sdwa v122, v122, s2 dst_sel:DWORD dst_unused:UNUSED_PAD src0_sel:BYTE_1 src1_sel:DWORD
	v_lshlrev_b32_sdwa v123, v155, v123 dst_sel:DWORD dst_unused:UNUSED_PAD src0_sel:DWORD src1_sel:BYTE_0
	v_fma_f32 v43, v43, 2.0, -v42
	v_add3_u32 v122, 0, v122, v123
	ds_write2_b32 v122, v43, v42 offset1:28
	v_mul_u32_u24_sdwa v42, v124, s2 dst_sel:DWORD dst_unused:UNUSED_PAD src0_sel:BYTE_1 src1_sel:DWORD
	v_lshlrev_b32_sdwa v43, v155, v125 dst_sel:DWORD dst_unused:UNUSED_PAD src0_sel:DWORD src1_sel:BYTE_0
	v_add3_u32 v123, 0, v42, v43
	s_waitcnt vmcnt(15)
	v_mul_f32_e32 v42, v70, v77
	v_fmac_f32_e32 v42, v21, v76
	v_sub_f32_e32 v42, v40, v42
	v_fma_f32 v40, v40, 2.0, -v42
	ds_write2_b32 v123, v40, v42 offset1:28
	s_waitcnt vmcnt(14)
	v_mul_f32_e32 v40, v71, v75
	v_fmac_f32_e32 v40, v22, v74
	v_sub_f32_e32 v40, v41, v40
	v_lshlrev_b32_sdwa v42, v155, v127 dst_sel:DWORD dst_unused:UNUSED_PAD src0_sel:DWORD src1_sel:BYTE_0
	v_mul_u32_u24_sdwa v43, v126, s2 dst_sel:DWORD dst_unused:UNUSED_PAD src0_sel:BYTE_1 src1_sel:DWORD
	v_fma_f32 v41, v41, 2.0, -v40
	v_add3_u32 v124, 0, v43, v42
	ds_write2_b32 v124, v41, v40 offset1:28
	v_mul_u32_u24_e32 v40, 0xe0, v128
	v_lshlrev_b32_e32 v41, 2, v129
	v_add3_u32 v125, 0, v40, v41
	s_waitcnt vmcnt(13)
	v_mul_f32_e32 v40, v66, v89
	v_fmac_f32_e32 v40, v19, v88
	v_sub_f32_e32 v40, v38, v40
	v_fma_f32 v38, v38, 2.0, -v40
	ds_write2_b32 v125, v38, v40 offset1:28
	s_waitcnt vmcnt(12)
	v_mul_f32_e32 v38, v67, v87
	v_fmac_f32_e32 v38, v20, v86
	v_sub_f32_e32 v38, v39, v38
	v_mul_u32_u24_e32 v40, 0xe0, v130
	v_lshlrev_b32_e32 v41, 2, v131
	v_fma_f32 v39, v39, 2.0, -v38
	v_add3_u32 v126, 0, v40, v41
	ds_write2_b32 v126, v39, v38 offset1:28
	v_mul_u32_u24_e32 v38, 0xe0, v132
	v_lshlrev_b32_e32 v39, 2, v133
	v_add3_u32 v127, 0, v38, v39
	s_waitcnt vmcnt(11)
	v_mul_f32_e32 v38, v68, v85
	v_fmac_f32_e32 v38, v17, v84
	v_sub_f32_e32 v38, v36, v38
	v_fma_f32 v36, v36, 2.0, -v38
	ds_write2_b32 v127, v36, v38 offset1:28
	s_waitcnt vmcnt(10)
	v_mul_f32_e32 v36, v69, v83
	v_fmac_f32_e32 v36, v18, v82
	v_sub_f32_e32 v36, v37, v36
	v_mul_u32_u24_e32 v39, 0xe0, v134
	v_lshlrev_b32_e32 v40, 2, v135
	v_fma_f32 v37, v37, 2.0, -v36
	s_waitcnt vmcnt(9)
	v_mul_f32_e32 v38, v64, v99
	v_add3_u32 v128, 0, v39, v40
	v_fmac_f32_e32 v38, v15, v98
	s_waitcnt vmcnt(8)
	v_mul_f32_e32 v39, v65, v97
	ds_write2_b32 v128, v37, v36 offset1:28
	s_waitcnt vmcnt(7)
	v_mul_f32_e32 v36, v62, v95
	v_fmac_f32_e32 v39, v16, v96
	v_fmac_f32_e32 v36, v13, v94
	v_mul_u32_u24_e32 v40, 0xe0, v136
	v_lshlrev_b32_e32 v41, 2, v137
	v_sub_f32_e32 v38, v118, v38
	v_mul_u32_u24_e32 v42, 0xe0, v138
	v_lshlrev_b32_e32 v43, 2, v139
	s_waitcnt vmcnt(6)
	v_mul_f32_e32 v37, v63, v93
	v_add3_u32 v129, 0, v40, v41
	v_fma_f32 v41, v118, 2.0, -v38
	v_sub_f32_e32 v39, v32, v39
	v_add3_u32 v118, 0, v42, v43
	v_sub_f32_e32 v36, v33, v36
	v_mul_u32_u24_e32 v42, 0xe0, v140
	v_lshlrev_b32_e32 v43, 2, v141
	v_fmac_f32_e32 v37, v14, v92
	v_fma_f32 v32, v32, 2.0, -v39
	v_fma_f32 v33, v33, 2.0, -v36
	v_add3_u32 v130, 0, v42, v43
	s_waitcnt vmcnt(5)
	v_mul_f32_e32 v40, v60, v109
	ds_write2_b32 v129, v41, v38 offset1:28
	ds_write2_b32 v118, v32, v39 offset1:28
	v_sub_f32_e32 v37, v30, v37
	ds_write2_b32 v130, v33, v36 offset1:28
	v_mul_u32_u24_e32 v33, 0xe0, v142
	v_lshlrev_b32_e32 v36, 2, v143
	v_fmac_f32_e32 v40, v9, v108
	v_fma_f32 v30, v30, 2.0, -v37
	v_add3_u32 v131, 0, v33, v36
	s_waitcnt vmcnt(4)
	v_mul_f32_e32 v38, v61, v105
	v_sub_f32_e32 v40, v31, v40
	ds_write2_b32 v131, v30, v37 offset1:28
	v_mul_u32_u24_e32 v30, 0xe0, v144
	v_lshlrev_b32_e32 v33, 2, v145
	v_fmac_f32_e32 v38, v10, v104
	v_fma_f32 v31, v31, 2.0, -v40
	v_add3_u32 v132, 0, v30, v33
	s_waitcnt vmcnt(3)
	v_mul_f32_e32 v41, v58, v103
	;; [unrolled: 9-line block ×4, first 2 shown]
	v_sub_f32_e32 v32, v26, v32
	ds_write2_b32 v135, v29, v41 offset1:28
	v_mul_u32_u24_e32 v28, 0xe0, v150
	v_lshlrev_b32_e32 v29, 2, v151
	v_fmac_f32_e32 v39, v7, v106
	v_fma_f32 v26, v26, 2.0, -v32
	v_add3_u32 v136, 0, v28, v29
	v_sub_f32_e32 v39, v27, v39
	ds_write2_b32 v136, v26, v32 offset1:28
	v_mul_u32_u24_e32 v26, 0xe0, v152
	v_lshlrev_b32_e32 v28, 2, v153
	v_fma_f32 v27, v27, 2.0, -v39
	v_add3_u32 v137, 0, v26, v28
	v_lshl_add_u32 v134, v154, 2, 0
	ds_write2_b32 v137, v27, v39 offset1:28
	s_and_saveexec_b64 s[2:3], vcc
	s_cbranch_execz .LBB0_25
; %bb.24:
	s_waitcnt vmcnt(0)
	v_mul_f32_e32 v26, v8, v91
	v_fmac_f32_e32 v26, v6, v90
	v_sub_f32_e32 v26, v5, v26
	v_fma_f32 v5, v5, 2.0, -v26
	v_add_u32_e32 v27, 0x1c00, v134
	ds_write2_b32 v27, v5, v26 offset0:112 offset1:140
.LBB0_25:
	s_or_b64 exec, exec, s[2:3]
	v_mul_f32_e32 v17, v17, v85
	v_mul_f32_e32 v18, v18, v83
	;; [unrolled: 1-line block ×8, first 2 shown]
	v_fma_f32 v17, v68, v84, -v17
	v_fma_f32 v18, v69, v82, -v18
	v_fma_f32 v16, v65, v96, -v16
	v_fma_f32 v14, v63, v92, -v14
	v_fma_f32 v9, v60, v108, -v9
	v_fma_f32 v10, v61, v104, -v10
	v_mul_f32_e32 v12, v12, v101
	v_mul_f32_e32 v7, v7, v107
	;; [unrolled: 1-line block ×5, first 2 shown]
	v_fma_f32 v22, v71, v74, -v22
	v_mul_f32_e32 v19, v19, v89
	v_fma_f32 v20, v67, v86, -v20
	v_mul_f32_e32 v15, v15, v99
	v_mul_f32_e32 v13, v13, v95
	;; [unrolled: 1-line block ×3, first 2 shown]
	v_fma_f32 v12, v59, v100, -v12
	v_fma_f32 v7, v120, v106, -v7
	v_sub_f32_e32 v65, v50, v17
	v_sub_f32_e32 v67, v51, v18
	;; [unrolled: 1-line block ×6, first 2 shown]
	v_fma_f32 v5, v72, v80, -v5
	v_fma_f32 v23, v73, v78, -v23
	;; [unrolled: 1-line block ×7, first 2 shown]
	v_fma_f32 v66, v50, 2.0, -v65
	v_fma_f32 v68, v51, 2.0, -v67
	;; [unrolled: 1-line block ×6, first 2 shown]
	v_sub_f32_e32 v83, v34, v12
	v_sub_f32_e32 v7, v35, v7
	v_add_u32_e32 v49, 0x200, v0
	v_add_u32_e32 v48, 0x800, v0
	;; [unrolled: 1-line block ×7, first 2 shown]
	v_sub_f32_e32 v69, v25, v15
	v_sub_f32_e32 v73, v47, v13
	;; [unrolled: 1-line block ×3, first 2 shown]
	v_fma_f32 v84, v34, 2.0, -v83
	v_fma_f32 v85, v35, 2.0, -v7
	s_waitcnt lgkmcnt(0)
	; wave barrier
	s_waitcnt lgkmcnt(0)
	ds_read2_b32 v[13:14], v0 offset1:56
	ds_read2_b32 v[9:10], v49 offset0:96 offset1:152
	ds_read2_b32 v[41:42], v48 offset0:48 offset1:104
	;; [unrolled: 1-line block ×11, first 2 shown]
	v_sub_f32_e32 v63, v55, v20
	v_fma_f32 v74, v47, 2.0, -v73
	v_fma_f32 v82, v45, 2.0, -v81
	v_add_u32_e32 v45, 0x1200, v0
	v_add_u32_e32 v47, 0x1c00, v0
	;; [unrolled: 1-line block ×3, first 2 shown]
	v_sub_f32_e32 v59, v57, v23
	v_sub_f32_e32 v60, v52, v21
	;; [unrolled: 1-line block ×4, first 2 shown]
	v_fma_f32 v64, v55, 2.0, -v63
	v_fma_f32 v70, v25, 2.0, -v69
	ds_read2_b32 v[27:28], v45 offset0:80 offset1:136
	ds_read2_b32 v[25:26], v47 offset1:56
	ds_read2_b32 v[23:24], v50 offset0:192 offset1:248
	ds_read2_b32 v[21:22], v58 offset0:112 offset1:168
	;; [unrolled: 1-line block ×3, first 2 shown]
	ds_read_b32 v55, v0 offset:7616
	v_sub_f32_e32 v5, v56, v5
	v_fma_f32 v56, v56, 2.0, -v5
	v_fma_f32 v57, v57, 2.0, -v59
	;; [unrolled: 1-line block ×5, first 2 shown]
	s_waitcnt lgkmcnt(0)
	; wave barrier
	s_waitcnt lgkmcnt(0)
	ds_write2_b32 v121, v56, v5 offset1:28
	ds_write2_b32 v122, v57, v59 offset1:28
	;; [unrolled: 1-line block ×17, first 2 shown]
	s_and_saveexec_b64 s[2:3], vcc
	s_cbranch_execz .LBB0_27
; %bb.26:
	s_waitcnt vmcnt(0)
	v_mul_f32_e32 v5, v6, v91
	v_fma_f32 v5, v8, v90, -v5
	v_sub_f32_e32 v5, v119, v5
	v_fma_f32 v6, v119, 2.0, -v5
	v_add_u32_e32 v7, 0x1c00, v134
	ds_write2_b32 v7, v6, v5 offset0:112 offset1:140
.LBB0_27:
	s_or_b64 exec, exec, s[2:3]
	v_lshrrev_b16_e32 v7, 3, v112
	v_and_b32_e32 v7, 31, v7
	v_mov_b32_e32 v53, 56
	v_mul_lo_u16_e32 v7, 37, v7
	v_mul_lo_u16_sdwa v7, v7, v53 dst_sel:DWORD dst_unused:UNUSED_PAD src0_sel:BYTE_1 src1_sel:DWORD
	v_sub_u16_e32 v7, v112, v7
	v_and_b32_e32 v52, 0xff, v7
	v_mul_u32_u24_e32 v5, 6, v110
	v_mul_u32_u24_e32 v7, 6, v52
	v_lshlrev_b32_e32 v5, 3, v5
	v_lshlrev_b32_e32 v54, 3, v7
	s_waitcnt lgkmcnt(0)
	; wave barrier
	s_waitcnt lgkmcnt(0)
	global_load_dwordx4 v[59:62], v5, s[12:13] offset:416
	global_load_dwordx4 v[63:66], v5, s[12:13] offset:432
	;; [unrolled: 1-line block ×3, first 2 shown]
	ds_read2_b32 v[56:57], v0 offset1:56
	ds_read2_b32 v[5:6], v49 offset0:96 offset1:152
	ds_read2_b32 v[107:108], v48 offset0:48 offset1:104
	;; [unrolled: 1-line block ×8, first 2 shown]
	global_load_dwordx4 v[71:74], v54, s[12:13] offset:416
	ds_read2_b32 v[130:131], v51 offset0:176 offset1:232
	ds_read2_b32 v[7:8], v0 offset0:112 offset1:168
	;; [unrolled: 1-line block ×4, first 2 shown]
	ds_read2_b32 v[136:137], v47 offset1:56
	ds_read2_b32 v[138:139], v50 offset0:192 offset1:248
	global_load_dwordx4 v[75:78], v54, s[12:13] offset:448
	global_load_dwordx4 v[79:82], v54, s[12:13] offset:432
	v_lshrrev_b16_e32 v54, 3, v113
	v_lshrrev_b16_e32 v83, 3, v114
	v_and_b32_e32 v54, 31, v54
	v_mul_u32_u24_e32 v83, 0x2493, v83
	v_mul_lo_u16_e32 v54, 37, v54
	s_waitcnt vmcnt(6)
	v_mul_lo_u16_sdwa v91, v83, v53 dst_sel:DWORD dst_unused:UNUSED_PAD src0_sel:WORD_1 src1_sel:DWORD
	v_mul_lo_u16_sdwa v53, v54, v53 dst_sel:DWORD dst_unused:UNUSED_PAD src0_sel:BYTE_1 src1_sel:DWORD
	v_sub_u16_e32 v53, v113, v53
	v_and_b32_e32 v54, 0xff, v53
	v_mul_u32_u24_e32 v53, 6, v54
	v_lshlrev_b32_e32 v99, 3, v53
	ds_read2_b32 v[140:141], v58 offset0:112 offset1:168
	ds_read2_b32 v[142:143], v46 offset0:32 offset1:88
	ds_read_b32 v109, v0 offset:7616
	global_load_dwordx4 v[83:86], v99, s[12:13] offset:432
	global_load_dwordx4 v[87:90], v99, s[12:13] offset:416
	v_sub_u16_e32 v53, v114, v91
	v_mul_u32_u24_e32 v91, 6, v53
	v_lshlrev_b32_e32 v103, 3, v91
	global_load_dwordx4 v[91:94], v103, s[12:13] offset:448
	global_load_dwordx4 v[95:98], v103, s[12:13] offset:432
	s_nop 0
	global_load_dwordx4 v[99:102], v99, s[12:13] offset:448
	s_nop 0
	global_load_dwordx4 v[103:106], v103, s[12:13] offset:416
	s_mov_b32 s2, 0xbf5ff5aa
	s_mov_b32 s6, 0x3f3bfb3b
	;; [unrolled: 1-line block ×4, first 2 shown]
	s_waitcnt lgkmcnt(0)
	; wave barrier
	s_waitcnt vmcnt(11) lgkmcnt(0)
	v_mul_f32_e32 v144, v6, v60
	v_mul_f32_e32 v145, v10, v60
	;; [unrolled: 1-line block ×5, first 2 shown]
	v_fmac_f32_e32 v144, v10, v59
	v_fma_f32 v6, v6, v59, -v145
	v_fmac_f32_e32 v156, v35, v59
	v_fma_f32 v35, v126, v59, -v60
	s_waitcnt vmcnt(10)
	v_mul_f32_e32 v59, v128, v64
	v_mul_f32_e32 v147, v41, v62
	;; [unrolled: 1-line block ×4, first 2 shown]
	v_fmac_f32_e32 v146, v41, v61
	v_mul_f32_e32 v41, v108, v62
	v_fmac_f32_e32 v59, v33, v63
	v_mul_f32_e32 v33, v33, v64
	v_mul_f32_e32 v60, v121, v66
	;; [unrolled: 1-line block ×4, first 2 shown]
	s_waitcnt vmcnt(9)
	v_mul_f32_e32 v152, v123, v68
	v_mul_f32_e32 v154, v124, v70
	;; [unrolled: 1-line block ×3, first 2 shown]
	v_fmac_f32_e32 v148, v18, v63
	v_fma_f32 v18, v119, v63, -v149
	v_fmac_f32_e32 v41, v42, v61
	v_mul_f32_e32 v42, v42, v62
	v_fma_f32 v33, v128, v63, -v33
	v_fmac_f32_e32 v60, v40, v65
	v_mul_f32_e32 v40, v40, v66
	s_waitcnt vmcnt(8)
	v_mul_f32_e32 v63, v127, v72
	s_waitcnt vmcnt(6)
	v_mul_f32_e32 v66, v134, v82
	v_mul_f32_e32 v153, v16, v68
	v_fma_f32 v10, v107, v61, -v147
	v_fmac_f32_e32 v152, v16, v67
	v_fmac_f32_e32 v154, v37, v69
	v_fma_f32 v37, v124, v69, -v155
	v_fma_f32 v42, v108, v61, -v42
	v_mul_f32_e32 v61, v130, v68
	v_mul_f32_e32 v62, v125, v70
	v_fmac_f32_e32 v63, v36, v71
	v_mul_f32_e32 v36, v36, v72
	v_fmac_f32_e32 v66, v27, v81
	;; [unrolled: 2-line block ×3, first 2 shown]
	v_fma_f32 v39, v120, v65, -v151
	v_fma_f32 v16, v123, v67, -v153
	;; [unrolled: 1-line block ×3, first 2 shown]
	v_fmac_f32_e32 v61, v31, v67
	v_mul_f32_e32 v31, v31, v68
	v_fmac_f32_e32 v62, v38, v69
	v_mul_f32_e32 v38, v38, v70
	v_fma_f32 v36, v127, v71, -v36
	v_mul_f32_e32 v65, v129, v80
	v_fma_f32 v27, v134, v81, -v27
	v_mul_f32_e32 v68, v136, v78
	s_waitcnt vmcnt(4)
	v_mul_f32_e32 v70, v133, v90
	v_mul_f32_e32 v71, v140, v84
	;; [unrolled: 1-line block ×3, first 2 shown]
	v_add_f32_e32 v81, v144, v154
	v_add_f32_e32 v82, v6, v37
	v_sub_f32_e32 v6, v6, v37
	v_add_f32_e32 v37, v146, v152
	v_fma_f32 v38, v125, v69, -v38
	v_fmac_f32_e32 v65, v34, v79
	v_mul_f32_e32 v34, v34, v80
	v_fmac_f32_e32 v68, v25, v77
	v_mul_f32_e32 v25, v25, v78
	v_mul_f32_e32 v69, v138, v88
	v_fmac_f32_e32 v70, v30, v89
	v_mul_f32_e32 v30, v30, v90
	v_fmac_f32_e32 v71, v21, v83
	;; [unrolled: 2-line block ×3, first 2 shown]
	v_mul_f32_e32 v28, v28, v86
	v_add_f32_e32 v84, v10, v16
	v_sub_f32_e32 v10, v10, v16
	v_add_f32_e32 v16, v148, v150
	v_add_f32_e32 v86, v18, v39
	v_sub_f32_e32 v18, v39, v18
	v_add_f32_e32 v39, v37, v81
	v_fma_f32 v34, v129, v79, -v34
	v_fma_f32 v25, v136, v77, -v25
	v_fmac_f32_e32 v69, v23, v87
	v_mul_f32_e32 v23, v23, v88
	v_fma_f32 v30, v133, v89, -v30
	s_waitcnt vmcnt(2)
	v_mul_f32_e32 v77, v141, v96
	v_mul_f32_e32 v79, v143, v92
	v_mul_f32_e32 v80, v109, v94
	v_add_f32_e32 v88, v84, v82
	v_sub_f32_e32 v89, v37, v81
	v_sub_f32_e32 v81, v81, v16
	;; [unrolled: 1-line block ×3, first 2 shown]
	v_add_f32_e32 v16, v16, v39
	v_fma_f32 v23, v138, v87, -v23
	v_fma_f32 v21, v140, v83, -v21
	;; [unrolled: 1-line block ×3, first 2 shown]
	v_fmac_f32_e32 v77, v22, v95
	v_mul_f32_e32 v22, v22, v96
	v_fmac_f32_e32 v79, v20, v91
	v_mul_f32_e32 v20, v20, v92
	;; [unrolled: 2-line block ×3, first 2 shown]
	v_sub_f32_e32 v83, v144, v154
	v_sub_f32_e32 v85, v146, v152
	;; [unrolled: 1-line block ×3, first 2 shown]
	v_add_f32_e32 v39, v86, v88
	v_add_f32_e32 v13, v13, v16
	v_fma_f32 v22, v141, v95, -v22
	v_fma_f32 v20, v143, v91, -v20
	v_fma_f32 v55, v109, v93, -v55
	v_sub_f32_e32 v90, v84, v82
	v_sub_f32_e32 v82, v82, v86
	;; [unrolled: 1-line block ×3, first 2 shown]
	v_add_f32_e32 v91, v87, v85
	v_add_f32_e32 v92, v18, v10
	v_sub_f32_e32 v93, v87, v85
	v_sub_f32_e32 v94, v18, v10
	;; [unrolled: 1-line block ×3, first 2 shown]
	v_add_f32_e32 v86, v56, v39
	v_mov_b32_e32 v95, v13
	v_sub_f32_e32 v87, v83, v87
	v_sub_f32_e32 v18, v6, v18
	;; [unrolled: 1-line block ×3, first 2 shown]
	v_add_f32_e32 v83, v91, v83
	v_add_f32_e32 v6, v92, v6
	v_mul_f32_e32 v56, 0x3f4a47b2, v81
	v_mul_f32_e32 v81, 0x3f4a47b2, v82
	;; [unrolled: 1-line block ×7, first 2 shown]
	v_fmac_f32_e32 v95, 0xbf955555, v16
	v_mov_b32_e32 v16, v86
	v_mul_f32_e32 v94, 0xbf5ff5aa, v10
	v_fmac_f32_e32 v16, 0xbf955555, v39
	v_fma_f32 v39, v89, s6, -v82
	v_fma_f32 v82, v90, s6, -v88
	;; [unrolled: 1-line block ×3, first 2 shown]
	v_fmac_f32_e32 v56, 0x3d64c772, v37
	v_fma_f32 v37, v90, s3, -v81
	v_fmac_f32_e32 v81, 0x3d64c772, v84
	v_fma_f32 v84, v85, s2, -v91
	v_fma_f32 v10, v10, s2, -v92
	v_fmac_f32_e32 v92, 0xbeae86e6, v18
	v_fma_f32 v85, v87, s7, -v93
	v_fma_f32 v18, v18, s7, -v94
	v_add_f32_e32 v56, v56, v95
	v_add_f32_e32 v81, v81, v16
	;; [unrolled: 1-line block ×5, first 2 shown]
	v_fmac_f32_e32 v92, 0xbee1c552, v6
	v_fmac_f32_e32 v84, 0xbee1c552, v83
	;; [unrolled: 1-line block ×4, first 2 shown]
	v_fma_f32 v31, v130, v67, -v31
	v_fmac_f32_e32 v91, 0xbeae86e6, v87
	v_add_f32_e32 v87, v88, v95
	v_fmac_f32_e32 v18, 0xbee1c552, v6
	v_add_f32_e32 v6, v92, v56
	v_sub_f32_e32 v88, v16, v85
	v_sub_f32_e32 v89, v39, v10
	v_add_f32_e32 v90, v84, v82
	v_add_f32_e32 v10, v10, v39
	v_sub_f32_e32 v39, v82, v84
	v_add_f32_e32 v82, v85, v16
	v_sub_f32_e32 v16, v56, v92
	v_add_f32_e32 v56, v156, v62
	v_add_f32_e32 v84, v35, v38
	v_sub_f32_e32 v35, v35, v38
	v_add_f32_e32 v38, v41, v61
	v_add_f32_e32 v85, v42, v31
	v_sub_f32_e32 v41, v41, v61
	v_sub_f32_e32 v31, v42, v31
	v_add_f32_e32 v42, v59, v60
	v_add_f32_e32 v61, v33, v40
	v_sub_f32_e32 v33, v40, v33
	v_add_f32_e32 v40, v38, v56
	v_sub_f32_e32 v59, v60, v59
	v_add_f32_e32 v60, v85, v84
	v_add_f32_e32 v40, v42, v40
	v_fmac_f32_e32 v91, 0xbee1c552, v83
	v_add_f32_e32 v37, v18, v87
	v_sub_f32_e32 v18, v87, v18
	v_sub_f32_e32 v62, v156, v62
	;; [unrolled: 1-line block ×5, first 2 shown]
	v_add_f32_e32 v92, v59, v41
	v_add_f32_e32 v42, v61, v60
	;; [unrolled: 1-line block ×3, first 2 shown]
	v_sub_f32_e32 v83, v81, v91
	v_add_f32_e32 v81, v91, v81
	v_sub_f32_e32 v91, v85, v84
	v_sub_f32_e32 v84, v84, v61
	;; [unrolled: 1-line block ×3, first 2 shown]
	v_add_f32_e32 v93, v33, v31
	v_sub_f32_e32 v94, v59, v41
	v_sub_f32_e32 v95, v33, v31
	;; [unrolled: 1-line block ×3, first 2 shown]
	v_add_f32_e32 v60, v92, v62
	v_add_f32_e32 v92, v57, v42
	v_mov_b32_e32 v96, v14
	v_sub_f32_e32 v59, v62, v59
	v_sub_f32_e32 v33, v35, v33
	;; [unrolled: 1-line block ×3, first 2 shown]
	v_add_f32_e32 v35, v93, v35
	v_mul_f32_e32 v56, 0x3f4a47b2, v56
	v_mul_f32_e32 v57, 0x3f4a47b2, v84
	;; [unrolled: 1-line block ×7, first 2 shown]
	v_fmac_f32_e32 v96, 0xbf955555, v40
	v_mov_b32_e32 v40, v92
	v_mul_f32_e32 v64, v132, v74
	v_mul_f32_e32 v67, v131, v76
	v_mul_f32_e32 v95, 0xbf5ff5aa, v31
	v_fmac_f32_e32 v40, 0xbf955555, v42
	v_fma_f32 v42, v87, s6, -v61
	v_fma_f32 v61, v91, s6, -v62
	;; [unrolled: 1-line block ×3, first 2 shown]
	v_fmac_f32_e32 v56, 0x3d64c772, v38
	v_fma_f32 v38, v91, s3, -v57
	v_fma_f32 v41, v41, s2, -v84
	v_fmac_f32_e32 v84, 0xbeae86e6, v59
	v_fma_f32 v31, v31, s2, -v93
	v_fmac_f32_e32 v93, 0xbeae86e6, v33
	;; [unrolled: 2-line block ×3, first 2 shown]
	v_mul_f32_e32 v29, v29, v74
	v_fmac_f32_e32 v67, v32, v75
	v_mul_f32_e32 v32, v32, v76
	v_fma_f32 v33, v33, s7, -v95
	v_add_f32_e32 v56, v56, v96
	v_add_f32_e32 v42, v42, v96
	;; [unrolled: 1-line block ×3, first 2 shown]
	v_fmac_f32_e32 v93, 0xbee1c552, v35
	v_fmac_f32_e32 v31, 0xbee1c552, v35
	;; [unrolled: 1-line block ×3, first 2 shown]
	v_fma_f32 v29, v132, v73, -v29
	v_fma_f32 v32, v131, v75, -v32
	v_fmac_f32_e32 v57, 0x3d64c772, v85
	v_add_f32_e32 v62, v62, v96
	v_fmac_f32_e32 v33, 0xbee1c552, v35
	v_add_f32_e32 v35, v93, v56
	v_sub_f32_e32 v85, v38, v59
	v_sub_f32_e32 v87, v42, v31
	v_add_f32_e32 v31, v31, v42
	v_add_f32_e32 v94, v59, v38
	v_sub_f32_e32 v38, v56, v93
	v_add_f32_e32 v42, v63, v68
	v_add_f32_e32 v56, v36, v25
	;; [unrolled: 3-line block ×3, first 2 shown]
	v_add_f32_e32 v61, v61, v40
	v_fmac_f32_e32 v84, 0xbee1c552, v60
	v_fmac_f32_e32 v41, 0xbee1c552, v60
	v_add_f32_e32 v60, v33, v62
	v_sub_f32_e32 v33, v62, v33
	v_add_f32_e32 v59, v29, v32
	v_sub_f32_e32 v29, v29, v32
	v_add_f32_e32 v32, v65, v66
	v_add_f32_e32 v62, v34, v27
	v_sub_f32_e32 v27, v27, v34
	v_add_f32_e32 v34, v36, v42
	v_sub_f32_e32 v40, v57, v84
	;; [unrolled: 2-line block ×4, first 2 shown]
	v_sub_f32_e32 v61, v64, v67
	v_sub_f32_e32 v63, v66, v65
	v_add_f32_e32 v64, v59, v56
	v_sub_f32_e32 v65, v36, v42
	v_sub_f32_e32 v42, v42, v32
	;; [unrolled: 1-line block ×3, first 2 shown]
	v_add_f32_e32 v32, v32, v34
	v_add_f32_e32 v34, v62, v64
	;; [unrolled: 1-line block ×3, first 2 shown]
	v_sub_f32_e32 v66, v59, v56
	v_sub_f32_e32 v56, v56, v62
	;; [unrolled: 1-line block ×3, first 2 shown]
	v_add_f32_e32 v67, v63, v61
	v_sub_f32_e32 v93, v63, v61
	v_sub_f32_e32 v61, v61, v57
	v_add_f32_e32 v64, v7, v34
	v_mov_b32_e32 v96, v11
	s_waitcnt vmcnt(1)
	v_mul_f32_e32 v74, v137, v102
	v_add_f32_e32 v68, v27, v29
	v_sub_f32_e32 v95, v27, v29
	v_sub_f32_e32 v63, v57, v63
	;; [unrolled: 1-line block ×3, first 2 shown]
	v_add_f32_e32 v57, v67, v57
	v_mul_f32_e32 v7, 0x3f4a47b2, v42
	v_mul_f32_e32 v42, 0x3f4a47b2, v56
	;; [unrolled: 1-line block ×6, first 2 shown]
	v_fmac_f32_e32 v96, 0xbf955555, v32
	v_mov_b32_e32 v32, v64
	v_mul_f32_e32 v73, v142, v100
	v_fmac_f32_e32 v74, v26, v101
	v_mul_f32_e32 v26, v26, v102
	v_sub_f32_e32 v27, v25, v27
	v_add_f32_e32 v25, v68, v25
	v_mul_f32_e32 v68, 0x3f08b237, v95
	v_mul_f32_e32 v95, 0xbf5ff5aa, v29
	v_fmac_f32_e32 v32, 0xbf955555, v34
	v_fma_f32 v34, v65, s6, -v56
	v_fma_f32 v56, v66, s6, -v62
	;; [unrolled: 1-line block ×3, first 2 shown]
	v_fmac_f32_e32 v7, 0x3d64c772, v36
	v_fma_f32 v36, v66, s3, -v42
	v_fmac_f32_e32 v42, 0x3d64c772, v59
	v_fma_f32 v59, v61, s2, -v67
	;; [unrolled: 2-line block ×3, first 2 shown]
	v_fmac_f32_e32 v73, v19, v99
	v_mul_f32_e32 v19, v19, v100
	v_fma_f32 v26, v137, v101, -v26
	v_fma_f32 v29, v29, s2, -v68
	v_fmac_f32_e32 v68, 0xbeae86e6, v27
	v_fma_f32 v27, v27, s7, -v95
	v_add_f32_e32 v42, v42, v32
	v_add_f32_e32 v56, v56, v32
	;; [unrolled: 1-line block ×3, first 2 shown]
	v_fmac_f32_e32 v67, 0xbee1c552, v57
	v_fmac_f32_e32 v61, 0xbee1c552, v57
	v_fma_f32 v19, v142, v99, -v19
	v_add_f32_e32 v34, v34, v96
	v_add_f32_e32 v62, v62, v96
	v_fmac_f32_e32 v59, 0xbee1c552, v57
	v_fmac_f32_e32 v29, 0xbee1c552, v25
	;; [unrolled: 1-line block ×3, first 2 shown]
	v_sub_f32_e32 v63, v42, v67
	v_sub_f32_e32 v65, v32, v61
	v_add_f32_e32 v93, v61, v32
	v_add_f32_e32 v67, v67, v42
	v_add_f32_e32 v32, v69, v74
	v_add_f32_e32 v42, v23, v26
	v_sub_f32_e32 v23, v23, v26
	v_add_f32_e32 v26, v70, v73
	v_add_f32_e32 v36, v27, v62
	v_sub_f32_e32 v57, v34, v29
	v_add_f32_e32 v66, v59, v56
	v_add_f32_e32 v29, v29, v34
	v_sub_f32_e32 v34, v56, v59
	v_sub_f32_e32 v27, v62, v27
	v_add_f32_e32 v59, v30, v19
	v_sub_f32_e32 v19, v30, v19
	v_add_f32_e32 v30, v71, v72
	v_add_f32_e32 v62, v21, v28
	v_sub_f32_e32 v21, v28, v21
	v_add_f32_e32 v28, v26, v32
	v_add_f32_e32 v7, v7, v96
	v_fmac_f32_e32 v68, 0xbee1c552, v25
	v_sub_f32_e32 v56, v69, v74
	v_add_f32_e32 v69, v59, v42
	v_add_f32_e32 v28, v30, v28
	;; [unrolled: 1-line block ×3, first 2 shown]
	v_sub_f32_e32 v7, v7, v68
	v_sub_f32_e32 v61, v70, v73
	v_sub_f32_e32 v68, v72, v71
	v_sub_f32_e32 v70, v26, v32
	v_sub_f32_e32 v32, v32, v30
	v_sub_f32_e32 v26, v30, v26
	v_add_f32_e32 v30, v62, v69
	v_add_f32_e32 v12, v12, v28
	v_sub_f32_e32 v71, v59, v42
	v_sub_f32_e32 v42, v42, v62
	;; [unrolled: 1-line block ×3, first 2 shown]
	v_add_f32_e32 v72, v68, v61
	v_add_f32_e32 v73, v21, v19
	v_sub_f32_e32 v74, v68, v61
	v_sub_f32_e32 v95, v21, v19
	;; [unrolled: 1-line block ×4, first 2 shown]
	v_add_f32_e32 v8, v8, v30
	v_mov_b32_e32 v96, v12
	s_waitcnt vmcnt(0)
	v_mul_f32_e32 v75, v139, v104
	v_sub_f32_e32 v68, v56, v68
	v_sub_f32_e32 v21, v23, v21
	v_add_f32_e32 v56, v72, v56
	v_add_f32_e32 v23, v73, v23
	v_mul_f32_e32 v32, 0x3f4a47b2, v32
	v_mul_f32_e32 v42, 0x3f4a47b2, v42
	;; [unrolled: 1-line block ×8, first 2 shown]
	v_fmac_f32_e32 v96, 0xbf955555, v28
	v_mov_b32_e32 v28, v8
	v_fmac_f32_e32 v75, v24, v103
	v_mul_f32_e32 v24, v24, v104
	v_mul_f32_e32 v76, v118, v106
	;; [unrolled: 1-line block ×3, first 2 shown]
	v_fmac_f32_e32 v28, 0xbf955555, v30
	v_fma_f32 v30, v70, s6, -v62
	v_fma_f32 v62, v71, s6, -v69
	;; [unrolled: 1-line block ×3, first 2 shown]
	v_fmac_f32_e32 v32, 0x3d64c772, v26
	v_fma_f32 v26, v71, s3, -v42
	v_fmac_f32_e32 v42, 0x3d64c772, v59
	v_fma_f32 v59, v61, s2, -v72
	v_fma_f32 v19, v19, s2, -v73
	v_fmac_f32_e32 v73, 0xbeae86e6, v21
	v_fma_f32 v61, v68, s7, -v74
	v_fma_f32 v21, v21, s7, -v95
	;; [unrolled: 1-line block ×3, first 2 shown]
	v_fmac_f32_e32 v76, v17, v105
	v_mul_f32_e32 v17, v17, v106
	v_fmac_f32_e32 v78, v15, v97
	v_mul_f32_e32 v15, v15, v98
	v_fmac_f32_e32 v72, 0xbeae86e6, v68
	v_add_f32_e32 v32, v32, v96
	v_add_f32_e32 v30, v30, v96
	;; [unrolled: 1-line block ×4, first 2 shown]
	v_fmac_f32_e32 v73, 0xbee1c552, v23
	v_fmac_f32_e32 v19, 0xbee1c552, v23
	;; [unrolled: 1-line block ×4, first 2 shown]
	v_fma_f32 v17, v118, v105, -v17
	v_fma_f32 v15, v122, v97, -v15
	v_add_f32_e32 v42, v42, v28
	v_add_f32_e32 v62, v62, v28
	v_fmac_f32_e32 v72, 0xbee1c552, v56
	v_fmac_f32_e32 v59, 0xbee1c552, v56
	v_add_f32_e32 v23, v73, v32
	v_add_f32_e32 v28, v21, v68
	v_sub_f32_e32 v70, v26, v61
	v_sub_f32_e32 v56, v30, v19
	v_add_f32_e32 v19, v19, v30
	v_sub_f32_e32 v21, v68, v21
	v_add_f32_e32 v68, v61, v26
	;; [unrolled: 2-line block ×3, first 2 shown]
	v_add_f32_e32 v32, v24, v55
	v_sub_f32_e32 v24, v24, v55
	v_add_f32_e32 v55, v76, v79
	v_add_f32_e32 v71, v59, v62
	v_sub_f32_e32 v74, v62, v59
	v_add_f32_e32 v59, v17, v20
	v_sub_f32_e32 v17, v17, v20
	v_add_f32_e32 v20, v77, v78
	v_add_f32_e32 v62, v22, v15
	v_sub_f32_e32 v15, v15, v22
	v_add_f32_e32 v22, v55, v30
	v_sub_f32_e32 v69, v42, v72
	;; [unrolled: 2-line block ×3, first 2 shown]
	v_sub_f32_e32 v61, v76, v79
	v_add_f32_e32 v75, v59, v32
	v_sub_f32_e32 v76, v55, v30
	v_sub_f32_e32 v30, v30, v20
	;; [unrolled: 1-line block ×3, first 2 shown]
	v_add_f32_e32 v20, v20, v22
	v_sub_f32_e32 v73, v78, v77
	v_add_f32_e32 v22, v62, v75
	v_add_f32_e32 v9, v9, v20
	ds_write2_b32 v0, v13, v6 offset1:56
	ds_write2_b32 v0, v37, v89 offset0:112 offset1:168
	ds_write2_b32 v49, v10, v18 offset0:96 offset1:152
	;; [unrolled: 1-line block ×3, first 2 shown]
	ds_write_b32 v117, v35
	v_lshl_add_u32 v10, v52, 2, 0
	v_sub_f32_e32 v77, v59, v32
	v_sub_f32_e32 v32, v32, v62
	;; [unrolled: 1-line block ×3, first 2 shown]
	v_add_f32_e32 v78, v73, v61
	v_add_f32_e32 v79, v15, v17
	v_sub_f32_e32 v80, v73, v61
	v_sub_f32_e32 v95, v15, v17
	;; [unrolled: 1-line block ×3, first 2 shown]
	v_add_f32_e32 v5, v5, v22
	v_mov_b32_e32 v96, v9
	v_add_u32_e32 v6, 0x600, v0
	v_add_u32_e32 v13, 0xc00, v10
	v_lshl_add_u32 v14, v54, 2, 0
	v_sub_f32_e32 v73, v42, v73
	v_sub_f32_e32 v15, v24, v15
	v_sub_f32_e32 v61, v61, v42
	v_add_f32_e32 v42, v78, v42
	v_add_f32_e32 v24, v79, v24
	v_mul_f32_e32 v30, 0x3f4a47b2, v30
	v_mul_f32_e32 v32, 0x3f4a47b2, v32
	v_mul_f32_e32 v62, 0x3d64c772, v55
	v_mul_f32_e32 v75, 0x3d64c772, v59
	v_mul_f32_e32 v78, 0x3f08b237, v80
	v_mul_f32_e32 v79, 0x3f08b237, v95
	v_mul_f32_e32 v95, 0xbf5ff5aa, v17
	v_fmac_f32_e32 v96, 0xbf955555, v20
	v_mov_b32_e32 v20, v5
	ds_write2_b32 v6, v60, v87 offset0:120 offset1:176
	ds_write2_b32 v48, v31, v33 offset0:104 offset1:160
	ds_write_b32 v0, v38 offset:2912
	ds_write2_b32 v13, v11, v25 offset0:16 offset1:72
	ds_write2_b32 v13, v36, v57 offset0:128 offset1:184
	v_add_u32_e32 v11, 0xe00, v10
	v_add_u32_e32 v33, 0x1000, v14
	v_mul_f32_e32 v80, 0xbf5ff5aa, v61
	v_fmac_f32_e32 v20, 0xbf955555, v22
	v_fma_f32 v22, v76, s6, -v62
	v_fma_f32 v62, v77, s6, -v75
	;; [unrolled: 1-line block ×3, first 2 shown]
	v_fmac_f32_e32 v30, 0x3d64c772, v55
	v_fma_f32 v55, v77, s3, -v32
	v_fmac_f32_e32 v32, 0x3d64c772, v59
	v_fma_f32 v59, v61, s2, -v78
	;; [unrolled: 2-line block ×4, first 2 shown]
	ds_write2_b32 v11, v29, v27 offset0:112 offset1:168
	ds_write_b32 v10, v7 offset:4480
	ds_write2_b32 v33, v12, v23 offset0:152 offset1:208
	v_add_u32_e32 v12, 0x1400, v14
	v_fma_f32 v61, v73, s7, -v80
	v_add_f32_e32 v30, v30, v96
	v_add_f32_e32 v32, v32, v20
	;; [unrolled: 1-line block ×3, first 2 shown]
	v_fmac_f32_e32 v78, 0xbee1c552, v42
	v_fmac_f32_e32 v79, 0xbee1c552, v24
	;; [unrolled: 1-line block ×3, first 2 shown]
	ds_write2_b32 v12, v28, v56 offset0:8 offset1:64
	ds_write2_b32 v12, v19, v21 offset0:120 offset1:176
	ds_write_b32 v14, v26 offset:6048
	v_lshl_add_u32 v21, v53, 2, 0
	v_add_f32_e32 v22, v22, v96
	v_fmac_f32_e32 v59, 0xbee1c552, v42
	v_fmac_f32_e32 v17, 0xbee1c552, v24
	;; [unrolled: 1-line block ×3, first 2 shown]
	v_add_f32_e32 v24, v79, v30
	v_sub_f32_e32 v75, v32, v78
	v_add_f32_e32 v42, v15, v73
	v_sub_f32_e32 v15, v73, v15
	v_add_f32_e32 v73, v78, v32
	v_add_u32_e32 v78, 0x1800, v21
	v_add_f32_e32 v62, v62, v20
	v_add_f32_e32 v20, v55, v20
	v_sub_f32_e32 v55, v22, v17
	v_add_f32_e32 v17, v17, v22
	v_sub_f32_e32 v22, v30, v79
	ds_write2_b32 v78, v9, v24 offset0:32 offset1:88
	ds_write2_b32 v78, v42, v55 offset0:144 offset1:200
	v_add_u32_e32 v9, 0x1c00, v21
	v_sub_f32_e32 v76, v20, v61
	v_add_f32_e32 v77, v59, v62
	v_sub_f32_e32 v80, v62, v59
	v_add_f32_e32 v20, v61, v20
	ds_write2_b32 v9, v17, v15 offset1:56
	ds_write_b32 v21, v22 offset:7616
	s_waitcnt lgkmcnt(0)
	; wave barrier
	s_waitcnt lgkmcnt(0)
	ds_read2_b32 v[15:16], v0 offset1:56
	ds_read2_b32 v[25:26], v50 offset0:80 offset1:136
	ds_read2_b32 v[22:23], v43 offset0:16 offset1:72
	;; [unrolled: 1-line block ×13, first 2 shown]
	ds_read2_b32 v[46:47], v47 offset1:56
	ds_read2_b32 v[31:32], v48 offset0:160 offset1:216
	ds_read2_b32 v[29:30], v51 offset0:176 offset1:232
	ds_read_b32 v7, v0 offset:7616
	s_waitcnt lgkmcnt(0)
	; wave barrier
	s_waitcnt lgkmcnt(0)
	ds_write2_b32 v0, v86, v83 offset1:56
	ds_write2_b32 v0, v88, v90 offset0:112 offset1:168
	ds_write2_b32 v49, v39, v82 offset0:96 offset1:152
	;; [unrolled: 1-line block ×3, first 2 shown]
	ds_write_b32 v117, v40
	ds_write2_b32 v6, v85, v91 offset0:120 offset1:176
	ds_write2_b32 v48, v41, v94 offset0:104 offset1:160
	ds_write_b32 v0, v84 offset:2912
	ds_write2_b32 v13, v64, v63 offset0:16 offset1:72
	ds_write2_b32 v13, v65, v66 offset0:128 offset1:184
	ds_write2_b32 v11, v34, v93 offset0:112 offset1:168
	ds_write_b32 v10, v67 offset:4480
	ds_write2_b32 v33, v8, v69 offset0:152 offset1:208
	;; [unrolled: 4-line block ×3, first 2 shown]
	ds_write2_b32 v78, v76, v77 offset0:144 offset1:200
	ds_write2_b32 v9, v80, v20 offset1:56
	ds_write_b32 v21, v73 offset:7616
	s_waitcnt lgkmcnt(0)
	; wave barrier
	s_waitcnt lgkmcnt(0)
	s_and_saveexec_b64 s[2:3], s[0:1]
	s_cbranch_execz .LBB0_29
; %bb.28:
	v_lshlrev_b32_e32 v5, 2, v116
	v_mov_b32_e32 v6, 0
	v_lshlrev_b64 v[8:9], 3, v[5:6]
	v_mov_b32_e32 v70, s13
	v_add_co_u32_e32 v12, vcc, s12, v8
	v_addc_co_u32_e32 v13, vcc, v70, v9, vcc
	global_load_dwordx4 v[8:11], v[12:13], off offset:3104
	global_load_dwordx4 v[48:51], v[12:13], off offset:3120
	v_lshlrev_b32_e32 v12, 2, v115
	v_mov_b32_e32 v13, v6
	v_lshlrev_b64 v[12:13], 3, v[12:13]
	v_add_u32_e32 v69, 0x800, v0
	v_add_co_u32_e32 v12, vcc, s12, v12
	v_addc_co_u32_e32 v13, vcc, v70, v13, vcc
	v_mul_lo_u32 v14, s5, v3
	v_mul_lo_u32 v24, s4, v4
	v_mad_u64_u32 v[20:21], s[0:1], s4, v3, 0
	v_add_u32_e32 v3, 0x1000, v0
	ds_read_b32 v76, v0 offset:7616
	ds_read2_b32 v[33:34], v69 offset0:160 offset1:216
	ds_read2_b32 v[4:5], v3 offset0:96 offset1:152
	global_load_dwordx4 v[64:67], v[12:13], off offset:3120
	global_load_dwordx4 v[72:75], v[12:13], off offset:3104
	v_add_u32_e32 v90, 0x1400, v0
	v_add_u32_e32 v71, 0x400, v0
	ds_read2_b32 v[80:81], v90 offset0:176 offset1:232
	ds_read2_b32 v[40:41], v71 offset0:80 offset1:136
	v_add3_u32 v21, v21, v24, v14
	v_lshlrev_b32_e32 v17, 2, v114
	v_lshlrev_b32_e32 v68, 2, v113
	;; [unrolled: 1-line block ×3, first 2 shown]
	v_add_u32_e32 v98, 0xc00, v0
	v_add_u32_e32 v99, 0x1800, v0
	v_lshlrev_b32_e32 v58, 2, v111
	v_lshlrev_b32_e32 v39, 2, v110
	s_mov_b32 s1, 0x5397829d
	s_movk_i32 s0, 0x1000
	s_waitcnt vmcnt(3)
	v_mul_f32_e32 v3, v32, v9
	s_waitcnt vmcnt(2)
	v_mul_f32_e32 v13, v7, v51
	v_mul_f32_e32 v14, v30, v49
	s_waitcnt lgkmcnt(2)
	v_mul_f32_e32 v77, v4, v11
	s_waitcnt lgkmcnt(1)
	v_mul_f32_e32 v49, v81, v49
	v_mul_f32_e32 v12, v18, v11
	;; [unrolled: 1-line block ×4, first 2 shown]
	v_fma_f32 v34, v8, v34, -v3
	v_fma_f32 v13, v50, v76, -v13
	v_fmac_f32_e32 v77, v18, v10
	v_fmac_f32_e32 v49, v30, v48
	v_fma_f32 v78, v10, v4, -v12
	v_fma_f32 v14, v48, v81, -v14
	v_fmac_f32_e32 v24, v32, v8
	v_fmac_f32_e32 v51, v7, v50
	v_add_f32_e32 v10, v77, v49
	v_add_f32_e32 v79, v34, v13
	v_sub_f32_e32 v3, v34, v78
	v_add_f32_e32 v7, v78, v14
	v_sub_f32_e32 v8, v24, v77
	v_sub_f32_e32 v9, v51, v49
	;; [unrolled: 1-line block ×4, first 2 shown]
	v_fma_f32 v11, -0.5, v10, v25
	s_waitcnt lgkmcnt(0)
	v_fma_f32 v10, -0.5, v79, v40
	v_add_f32_e32 v34, v34, v40
	v_sub_f32_e32 v4, v13, v14
	v_sub_f32_e32 v30, v77, v49
	v_fma_f32 v12, -0.5, v7, v40
	v_add_f32_e32 v85, v8, v9
	v_mov_b32_e32 v8, v10
	v_add_f32_e32 v34, v78, v34
	v_sub_f32_e32 v18, v24, v51
	v_sub_f32_e32 v48, v78, v14
	;; [unrolled: 1-line block ×3, first 2 shown]
	v_add_f32_e32 v84, v3, v4
	v_mov_b32_e32 v4, v12
	v_fmac_f32_e32 v8, 0x3f737871, v30
	v_fmac_f32_e32 v10, 0xbf737871, v30
	v_add_f32_e32 v14, v14, v34
	v_sub_f32_e32 v81, v77, v24
	v_sub_f32_e32 v82, v49, v51
	v_add_f32_e32 v83, v24, v51
	v_fmac_f32_e32 v4, 0xbf737871, v18
	v_fmac_f32_e32 v8, 0xbf167918, v18
	;; [unrolled: 1-line block ×3, first 2 shown]
	v_add_f32_e32 v14, v13, v14
	v_add_f32_e32 v13, v25, v24
	v_fmac_f32_e32 v12, 0x3f737871, v18
	s_waitcnt vmcnt(0)
	v_mul_f32_e32 v18, v31, v73
	v_add_u32_e32 v24, 0xe00, v0
	v_add_f32_e32 v50, v50, v76
	v_add_f32_e32 v76, v81, v82
	v_fmac_f32_e32 v4, 0xbf167918, v30
	v_fmac_f32_e32 v12, 0x3f167918, v30
	ds_read2_b32 v[81:82], v24 offset0:112 offset1:168
	v_fma_f32 v34, v72, v33, -v18
	v_add_u32_e32 v18, 0x1c00, v0
	v_fma_f32 v9, -0.5, v83, v25
	v_fmac_f32_e32 v4, 0x3e9e377a, v84
	v_fmac_f32_e32 v12, 0x3e9e377a, v84
	ds_read2_b32 v[83:84], v18 offset1:56
	v_mul_f32_e32 v18, v43, v75
	s_waitcnt lgkmcnt(1)
	v_fma_f32 v40, v74, v82, -v18
	v_mul_f32_e32 v18, v47, v67
	v_mov_b32_e32 v7, v9
	s_waitcnt lgkmcnt(0)
	v_fma_f32 v87, v66, v84, -v18
	v_mov_b32_e32 v18, v6
	v_lshlrev_b64 v[17:18], 3, v[17:18]
	v_mov_b32_e32 v3, v11
	v_fmac_f32_e32 v7, 0xbf737871, v48
	v_fmac_f32_e32 v9, 0x3f737871, v48
	v_add_f32_e32 v13, v13, v77
	v_add_co_u32_e32 v17, vcc, s12, v17
	v_fmac_f32_e32 v3, 0x3f737871, v32
	v_fmac_f32_e32 v7, 0x3f167918, v32
	;; [unrolled: 1-line block ×3, first 2 shown]
	v_add_f32_e32 v13, v13, v49
	v_fmac_f32_e32 v11, 0xbf737871, v32
	v_addc_co_u32_e32 v18, vcc, v70, v18, vcc
	v_fmac_f32_e32 v3, 0x3f167918, v48
	v_fmac_f32_e32 v8, 0x3e9e377a, v50
	;; [unrolled: 1-line block ×5, first 2 shown]
	v_add_f32_e32 v13, v51, v13
	v_fmac_f32_e32 v11, 0xbf167918, v48
	global_load_dwordx4 v[48:51], v[17:18], off offset:3120
	global_load_dwordx4 v[76:79], v[17:18], off offset:3104
	v_add_u32_e32 v17, 0x200, v0
	v_fmac_f32_e32 v3, 0x3e9e377a, v85
	v_fmac_f32_e32 v11, 0x3e9e377a, v85
	ds_read2_b32 v[85:86], v17 offset0:96 offset1:152
	v_mul_f32_e32 v25, v29, v65
	v_mul_f32_e32 v67, v84, v67
	v_fma_f32 v88, v64, v80, -v25
	v_fmac_f32_e32 v67, v47, v66
	v_mul_f32_e32 v66, v82, v75
	v_sub_f32_e32 v24, v34, v40
	v_sub_f32_e32 v17, v87, v88
	v_mul_f32_e32 v33, v33, v73
	v_fmac_f32_e32 v66, v43, v74
	v_mul_f32_e32 v43, v80, v65
	v_add_f32_e32 v89, v24, v17
	v_add_f32_e32 v17, v40, v88
	v_fmac_f32_e32 v33, v31, v72
	v_fmac_f32_e32 v43, v29, v64
	s_waitcnt lgkmcnt(0)
	v_fma_f32 v25, -0.5, v17, v86
	v_sub_f32_e32 v17, v33, v66
	v_sub_f32_e32 v24, v67, v43
	v_add_f32_e32 v65, v17, v24
	v_add_f32_e32 v17, v66, v43
	v_sub_f32_e32 v29, v40, v34
	v_sub_f32_e32 v30, v88, v87
	v_fma_f32 v24, -0.5, v17, v57
	v_sub_f32_e32 v72, v34, v87
	v_add_f32_e32 v74, v29, v30
	v_add_f32_e32 v29, v34, v87
	;; [unrolled: 1-line block ×3, first 2 shown]
	v_mov_b32_e32 v17, v24
	v_add_f32_e32 v34, v40, v34
	v_sub_f32_e32 v47, v33, v67
	v_mov_b32_e32 v18, v25
	v_fmac_f32_e32 v17, 0x3f737871, v72
	v_sub_f32_e32 v73, v40, v88
	v_fma_f32 v32, -0.5, v29, v86
	v_sub_f32_e32 v29, v66, v33
	v_sub_f32_e32 v31, v43, v67
	v_fmac_f32_e32 v24, 0xbf737871, v72
	v_add_f32_e32 v34, v88, v34
	v_fmac_f32_e32 v18, 0xbf737871, v47
	v_sub_f32_e32 v64, v66, v43
	v_fmac_f32_e32 v17, 0x3f167918, v73
	v_mov_b32_e32 v30, v32
	v_add_f32_e32 v75, v29, v31
	v_add_f32_e32 v29, v33, v67
	v_fmac_f32_e32 v25, 0x3f737871, v47
	v_fmac_f32_e32 v24, 0xbf167918, v73
	v_add_f32_e32 v34, v87, v34
	ds_read2_b32 v[86:87], v69 offset0:48 offset1:104
	v_mov_b32_e32 v69, v6
	v_fmac_f32_e32 v18, 0xbf167918, v64
	v_fmac_f32_e32 v17, 0x3e9e377a, v65
	;; [unrolled: 1-line block ×3, first 2 shown]
	v_fma_f32 v31, -0.5, v29, v57
	v_fmac_f32_e32 v25, 0x3f167918, v64
	v_fmac_f32_e32 v24, 0x3e9e377a, v65
	;; [unrolled: 1-line block ×3, first 2 shown]
	v_lshlrev_b64 v[64:65], 3, v[68:69]
	v_mov_b32_e32 v29, v31
	v_add_f32_e32 v33, v57, v33
	v_fmac_f32_e32 v29, 0xbf737871, v73
	v_add_f32_e32 v33, v33, v66
	v_fmac_f32_e32 v31, 0x3f737871, v73
	v_add_co_u32_e32 v88, vcc, s12, v64
	v_fmac_f32_e32 v18, 0x3e9e377a, v89
	v_fmac_f32_e32 v30, 0xbf167918, v47
	;; [unrolled: 1-line block ×4, first 2 shown]
	v_add_f32_e32 v33, v33, v43
	v_fmac_f32_e32 v32, 0x3f167918, v47
	v_fmac_f32_e32 v31, 0xbf167918, v72
	v_addc_co_u32_e32 v89, vcc, v70, v65, vcc
	v_fmac_f32_e32 v30, 0x3e9e377a, v74
	v_fmac_f32_e32 v29, 0x3e9e377a, v75
	v_add_f32_e32 v33, v67, v33
	v_fmac_f32_e32 v32, 0x3e9e377a, v74
	v_fmac_f32_e32 v31, 0x3e9e377a, v75
	global_load_dwordx4 v[65:68], v[88:89], off offset:3120
	global_load_dwordx4 v[72:75], v[88:89], off offset:3104
	ds_read2_b32 v[88:89], v90 offset0:64 offset1:120
	s_waitcnt vmcnt(3)
	v_mul_f32_e32 v47, v46, v51
	s_waitcnt vmcnt(2)
	v_mul_f32_e32 v40, v60, v77
	v_mul_f32_e32 v43, v42, v79
	v_fma_f32 v64, v50, v83, -v47
	v_mul_f32_e32 v47, v62, v49
	v_mul_f32_e32 v79, v81, v79
	s_waitcnt lgkmcnt(1)
	v_fma_f32 v40, v76, v87, -v40
	v_fma_f32 v57, v78, v81, -v43
	s_waitcnt lgkmcnt(0)
	v_fma_f32 v69, v48, v89, -v47
	v_fmac_f32_e32 v79, v42, v78
	v_mul_f32_e32 v78, v89, v49
	v_sub_f32_e32 v43, v40, v57
	v_sub_f32_e32 v47, v64, v69
	v_mul_f32_e32 v77, v87, v77
	v_fmac_f32_e32 v78, v62, v48
	v_sub_f32_e32 v48, v57, v40
	v_sub_f32_e32 v49, v69, v64
	v_add_f32_e32 v80, v43, v47
	v_add_f32_e32 v43, v57, v69
	v_fmac_f32_e32 v77, v60, v76
	v_mul_f32_e32 v60, v83, v51
	v_sub_f32_e32 v82, v40, v64
	v_add_f32_e32 v84, v48, v49
	v_add_f32_e32 v48, v40, v64
	;; [unrolled: 1-line block ×3, first 2 shown]
	v_fma_f32 v47, -0.5, v43, v85
	v_fmac_f32_e32 v60, v46, v50
	v_add_f32_e32 v40, v57, v40
	v_sub_f32_e32 v76, v77, v60
	v_mov_b32_e32 v43, v47
	v_sub_f32_e32 v42, v77, v79
	v_sub_f32_e32 v46, v60, v78
	v_fma_f32 v51, -0.5, v48, v85
	v_add_f32_e32 v40, v69, v40
	v_fmac_f32_e32 v43, 0xbf737871, v76
	v_sub_f32_e32 v62, v79, v78
	v_add_f32_e32 v81, v42, v46
	v_add_f32_e32 v42, v79, v78
	v_sub_f32_e32 v83, v57, v69
	v_mov_b32_e32 v49, v51
	v_sub_f32_e32 v48, v79, v77
	v_sub_f32_e32 v50, v78, v60
	v_fmac_f32_e32 v47, 0x3f737871, v76
	v_add_f32_e32 v57, v64, v40
	v_mov_b32_e32 v64, v6
	v_fmac_f32_e32 v43, 0xbf167918, v62
	v_fma_f32 v46, -0.5, v42, v56
	v_fmac_f32_e32 v49, 0x3f737871, v62
	v_add_f32_e32 v87, v48, v50
	v_add_f32_e32 v48, v77, v60
	v_fmac_f32_e32 v51, 0xbf737871, v62
	v_fmac_f32_e32 v47, 0x3f167918, v62
	v_lshlrev_b64 v[62:63], 3, v[63:64]
	v_mov_b32_e32 v42, v46
	v_fma_f32 v50, -0.5, v48, v56
	v_fmac_f32_e32 v42, 0x3f737871, v82
	v_mov_b32_e32 v48, v50
	v_fmac_f32_e32 v46, 0xbf737871, v82
	v_add_f32_e32 v40, v56, v77
	v_add_co_u32_e32 v62, vcc, s12, v62
	v_fmac_f32_e32 v42, 0x3f167918, v83
	v_fmac_f32_e32 v48, 0xbf737871, v83
	;; [unrolled: 1-line block ×4, first 2 shown]
	v_add_f32_e32 v40, v40, v79
	v_addc_co_u32_e32 v63, vcc, v70, v63, vcc
	v_fmac_f32_e32 v43, 0x3e9e377a, v80
	v_fmac_f32_e32 v42, 0x3e9e377a, v81
	;; [unrolled: 1-line block ×8, first 2 shown]
	v_add_f32_e32 v40, v40, v78
	ds_read2_b32 v[89:90], v98 offset0:128 offset1:184
	global_load_dwordx4 v[76:79], v[62:63], off offset:3120
	global_load_dwordx4 v[80:83], v[62:63], off offset:3104
	ds_read2_b32 v[91:92], v99 offset0:144 offset1:200
	s_waitcnt vmcnt(3)
	v_mul_f32_e32 v62, v61, v66
	ds_read2_b32 v[93:94], v0 offset0:112 offset1:168
	v_fmac_f32_e32 v49, 0x3e9e377a, v84
	v_fmac_f32_e32 v51, 0x3e9e377a, v84
	v_add_f32_e32 v56, v60, v40
	s_waitcnt vmcnt(2)
	v_mul_f32_e32 v40, v53, v75
	v_mul_f32_e32 v60, v59, v73
	v_fma_f32 v84, v65, v88, -v62
	v_mul_f32_e32 v62, v55, v68
	s_waitcnt lgkmcnt(2)
	v_fma_f32 v40, v74, v90, -v40
	v_fma_f32 v69, v72, v86, -v60
	s_waitcnt lgkmcnt(1)
	v_fma_f32 v85, v67, v92, -v62
	v_mul_f32_e32 v75, v90, v75
	v_mul_f32_e32 v73, v86, v73
	v_sub_f32_e32 v60, v40, v69
	v_sub_f32_e32 v62, v84, v85
	v_fmac_f32_e32 v75, v53, v74
	v_mul_f32_e32 v53, v88, v66
	v_fmac_f32_e32 v73, v59, v72
	v_mul_f32_e32 v59, v92, v68
	v_add_f32_e32 v64, v60, v62
	v_fmac_f32_e32 v53, v61, v65
	v_add_f32_e32 v60, v69, v85
	v_fmac_f32_e32 v59, v55, v67
	s_waitcnt lgkmcnt(0)
	v_fma_f32 v63, -0.5, v60, v94
	v_sub_f32_e32 v60, v75, v73
	v_sub_f32_e32 v62, v53, v59
	v_add_f32_e32 v65, v60, v62
	v_add_f32_e32 v60, v73, v59
	v_fma_f32 v62, -0.5, v60, v45
	v_sub_f32_e32 v74, v75, v53
	v_mov_b32_e32 v61, v63
	v_sub_f32_e32 v86, v40, v84
	v_mov_b32_e32 v60, v62
	v_fmac_f32_e32 v61, 0x3f737871, v74
	v_sub_f32_e32 v55, v73, v59
	v_sub_f32_e32 v72, v69, v85
	v_fmac_f32_e32 v60, 0xbf737871, v86
	v_fmac_f32_e32 v63, 0xbf737871, v74
	;; [unrolled: 1-line block ×11, first 2 shown]
	v_sub_f32_e32 v64, v69, v40
	v_sub_f32_e32 v65, v85, v84
	v_add_f32_e32 v68, v69, v94
	v_fmac_f32_e32 v48, 0x3e9e377a, v87
	v_fmac_f32_e32 v50, 0x3e9e377a, v87
	v_add_f32_e32 v87, v64, v65
	v_add_f32_e32 v64, v40, v84
	;; [unrolled: 1-line block ×8, first 2 shown]
	v_sub_f32_e32 v66, v59, v53
	v_add_f32_e32 v68, v40, v59
	v_add_u32_e32 v59, 0x1200, v0
	v_fma_f32 v65, -0.5, v64, v94
	ds_read2_b32 v[94:95], v71 offset0:192 offset1:248
	ds_read2_b32 v[96:97], v59 offset0:80 offset1:136
	v_mov_b32_e32 v67, v65
	v_sub_f32_e32 v64, v73, v75
	v_mov_b32_e32 v59, v6
	v_fmac_f32_e32 v67, 0x3f737871, v55
	v_add_f32_e32 v88, v64, v66
	v_add_f32_e32 v64, v75, v53
	v_fmac_f32_e32 v65, 0xbf737871, v55
	v_lshlrev_b64 v[58:59], 3, v[58:59]
	v_fma_f32 v64, -0.5, v64, v45
	v_mov_b32_e32 v66, v64
	s_waitcnt vmcnt(1)
	v_mul_f32_e32 v55, v54, v79
	s_waitcnt vmcnt(0)
	v_mul_f32_e32 v40, v38, v81
	v_mul_f32_e32 v45, v52, v83
	v_fma_f32 v75, v78, v91, -v55
	v_mul_f32_e32 v55, v36, v77
	s_waitcnt lgkmcnt(1)
	v_fma_f32 v40, v80, v95, -v40
	v_fma_f32 v45, v82, v89, -v45
	v_add_co_u32_e32 v58, vcc, s12, v58
	s_waitcnt lgkmcnt(0)
	v_fma_f32 v90, v76, v97, -v55
	v_fmac_f32_e32 v67, 0x3f167918, v74
	v_fmac_f32_e32 v66, 0xbf737871, v72
	;; [unrolled: 1-line block ×4, first 2 shown]
	v_sub_f32_e32 v53, v40, v45
	v_addc_co_u32_e32 v59, vcc, v70, v59, vcc
	v_sub_f32_e32 v55, v75, v90
	v_mul_f32_e32 v81, v95, v81
	v_fmac_f32_e32 v67, 0x3e9e377a, v87
	v_fmac_f32_e32 v66, 0xbf167918, v86
	;; [unrolled: 1-line block ×4, first 2 shown]
	global_load_dwordx4 v[71:74], v[58:59], off offset:3120
	global_load_dwordx4 v[84:87], v[58:59], off offset:3104
	v_add_f32_e32 v92, v53, v55
	v_add_f32_e32 v53, v45, v90
	v_fmac_f32_e32 v81, v38, v80
	v_mul_f32_e32 v38, v91, v79
	v_sub_f32_e32 v58, v45, v40
	v_sub_f32_e32 v59, v90, v75
	v_fma_f32 v55, -0.5, v53, v93
	v_fmac_f32_e32 v38, v54, v78
	v_mul_f32_e32 v79, v89, v83
	v_mul_f32_e32 v77, v97, v77
	v_add_f32_e32 v83, v58, v59
	v_add_f32_e32 v58, v40, v75
	v_sub_f32_e32 v78, v81, v38
	v_mov_b32_e32 v53, v55
	v_fmac_f32_e32 v79, v52, v82
	v_fmac_f32_e32 v77, v36, v76
	v_fma_f32 v59, -0.5, v58, v93
	v_fmac_f32_e32 v53, 0xbf737871, v78
	v_sub_f32_e32 v36, v79, v77
	v_mov_b32_e32 v89, v59
	v_fmac_f32_e32 v55, 0x3f737871, v78
	v_fmac_f32_e32 v53, 0xbf167918, v36
	;; [unrolled: 1-line block ×5, first 2 shown]
	v_add_f32_e32 v36, v40, v93
	v_add_f32_e32 v36, v45, v36
	;; [unrolled: 1-line block ×3, first 2 shown]
	v_sub_f32_e32 v82, v45, v90
	v_add_f32_e32 v45, v75, v36
	v_add_f32_e32 v36, v44, v81
	v_fmac_f32_e32 v66, 0x3e9e377a, v88
	v_fmac_f32_e32 v64, 0x3e9e377a, v88
	v_sub_f32_e32 v52, v81, v79
	v_sub_f32_e32 v54, v38, v77
	;; [unrolled: 1-line block ×4, first 2 shown]
	v_add_f32_e32 v36, v36, v79
	v_add_f32_e32 v76, v52, v54
	;; [unrolled: 1-line block ×3, first 2 shown]
	v_sub_f32_e32 v80, v40, v75
	v_add_f32_e32 v91, v58, v88
	v_add_f32_e32 v58, v81, v38
	;; [unrolled: 1-line block ×3, first 2 shown]
	v_mov_b32_e32 v40, v6
	v_fma_f32 v54, -0.5, v52, v44
	v_fma_f32 v58, -0.5, v58, v44
	v_add_f32_e32 v44, v38, v36
	v_lshlrev_b64 v[38:39], 3, v[39:40]
	v_mov_b32_e32 v52, v54
	v_fmac_f32_e32 v52, 0x3f737871, v80
	v_mov_b32_e32 v88, v58
	v_fmac_f32_e32 v54, 0xbf737871, v80
	v_add_co_u32_e32 v38, vcc, s12, v38
	v_fmac_f32_e32 v52, 0x3f167918, v82
	v_fmac_f32_e32 v88, 0xbf737871, v82
	v_fmac_f32_e32 v58, 0x3f737871, v82
	v_fmac_f32_e32 v54, 0xbf167918, v82
	v_addc_co_u32_e32 v39, vcc, v70, v39, vcc
	v_fmac_f32_e32 v52, 0x3e9e377a, v76
	v_fmac_f32_e32 v89, 0xbf167918, v78
	;; [unrolled: 1-line block ×6, first 2 shown]
	global_load_dwordx4 v[75:78], v[38:39], off offset:3120
	global_load_dwordx4 v[79:82], v[38:39], off offset:3104
	v_fmac_f32_e32 v88, 0x3e9e377a, v91
	v_fmac_f32_e32 v58, 0x3e9e377a, v91
	ds_read2_b32 v[38:39], v98 offset0:16 offset1:72
	ds_read2_b32 v[90:91], v99 offset0:32 offset1:88
	v_fmac_f32_e32 v53, 0x3e9e377a, v92
	v_fmac_f32_e32 v55, 0x3e9e377a, v92
	ds_read2_b32 v[92:93], v0 offset1:56
	v_fmac_f32_e32 v89, 0x3e9e377a, v83
	v_fmac_f32_e32 v59, 0x3e9e377a, v83
	s_waitcnt vmcnt(3)
	v_mul_f32_e32 v40, v28, v74
	s_waitcnt vmcnt(2)
	v_mul_f32_e32 v36, v37, v85
	v_mul_f32_e32 v85, v94, v85
	v_fma_f32 v83, v84, v94, -v36
	v_mul_f32_e32 v36, v23, v87
	s_waitcnt lgkmcnt(1)
	v_fma_f32 v97, v73, v91, -v40
	v_mul_f32_e32 v40, v35, v72
	v_fmac_f32_e32 v85, v37, v84
	v_mul_f32_e32 v37, v91, v74
	v_mul_f32_e32 v74, v39, v87
	v_fma_f32 v95, v86, v39, -v36
	v_fma_f32 v0, v71, v96, -v40
	v_fmac_f32_e32 v74, v23, v86
	v_mul_f32_e32 v23, v96, v72
	v_fmac_f32_e32 v23, v35, v71
	v_sub_f32_e32 v70, v95, v83
	v_sub_f32_e32 v71, v0, v97
	;; [unrolled: 1-line block ×4, first 2 shown]
	v_add_f32_e32 v94, v70, v71
	v_add_f32_e32 v70, v83, v97
	;; [unrolled: 1-line block ×4, first 2 shown]
	s_waitcnt lgkmcnt(0)
	v_fma_f32 v71, -0.5, v70, v93
	v_fma_f32 v36, -0.5, v36, v93
	v_fmac_f32_e32 v37, v28, v73
	v_sub_f32_e32 v84, v74, v23
	v_mov_b32_e32 v73, v71
	v_sub_f32_e32 v28, v85, v37
	v_mov_b32_e32 v40, v36
	v_fmac_f32_e32 v73, 0x3f737871, v84
	v_fmac_f32_e32 v71, 0xbf737871, v84
	;; [unrolled: 1-line block ×6, first 2 shown]
	v_add_f32_e32 v28, v83, v93
	v_add_f32_e32 v28, v95, v28
	v_sub_f32_e32 v91, v95, v0
	v_add_f32_e32 v0, v0, v28
	v_fmac_f32_e32 v40, 0xbf167918, v84
	v_sub_f32_e32 v35, v85, v74
	v_sub_f32_e32 v39, v37, v23
	v_fmac_f32_e32 v36, 0x3f167918, v84
	v_add_f32_e32 v84, v97, v0
	v_add_f32_e32 v0, v16, v85
	;; [unrolled: 1-line block ×4, first 2 shown]
	v_sub_f32_e32 v70, v74, v85
	v_sub_f32_e32 v72, v23, v37
	v_add_f32_e32 v0, v0, v74
	v_fma_f32 v35, -0.5, v35, v16
	v_add_f32_e32 v96, v70, v72
	v_add_f32_e32 v70, v85, v37
	;; [unrolled: 1-line block ×3, first 2 shown]
	v_sub_f32_e32 v87, v83, v97
	v_mov_b32_e32 v39, v35
	v_fma_f32 v70, -0.5, v70, v16
	v_add_f32_e32 v83, v37, v0
	v_fmac_f32_e32 v39, 0x3f737871, v87
	v_fmac_f32_e32 v35, 0xbf737871, v87
	;; [unrolled: 1-line block ×6, first 2 shown]
	v_mov_b32_e32 v72, v70
	v_fmac_f32_e32 v72, 0xbf737871, v91
	v_fmac_f32_e32 v70, 0x3f737871, v91
	s_waitcnt vmcnt(1)
	v_mul_f32_e32 v28, v27, v78
	s_waitcnt vmcnt(0)
	v_mul_f32_e32 v0, v26, v80
	v_mul_f32_e32 v16, v22, v82
	v_mul_f32_e32 v37, v19, v76
	v_fma_f32 v0, v79, v41, -v0
	v_fma_f32 v16, v81, v38, -v16
	;; [unrolled: 1-line block ×4, first 2 shown]
	v_sub_f32_e32 v23, v0, v16
	v_sub_f32_e32 v37, v28, v85
	v_mul_f32_e32 v41, v41, v80
	v_add_f32_e32 v86, v23, v37
	v_fmac_f32_e32 v41, v26, v79
	v_mul_f32_e32 v79, v38, v82
	v_sub_f32_e32 v37, v16, v0
	v_sub_f32_e32 v38, v85, v28
	;; [unrolled: 1-line block ×3, first 2 shown]
	v_add_f32_e32 v82, v37, v38
	v_add_f32_e32 v37, v0, v28
	v_add_f32_e32 v0, v0, v92
	v_add_f32_e32 v0, v16, v0
	v_mul_f32_e32 v78, v90, v78
	v_mul_f32_e32 v5, v5, v76
	v_add_f32_e32 v0, v85, v0
	v_add_f32_e32 v23, v16, v85
	v_fmac_f32_e32 v78, v27, v77
	v_fmac_f32_e32 v79, v22, v81
	;; [unrolled: 1-line block ×3, first 2 shown]
	v_sub_f32_e32 v81, v16, v85
	v_add_f32_e32 v16, v28, v0
	v_add_f32_e32 v0, v15, v41
	v_sub_f32_e32 v22, v41, v79
	v_sub_f32_e32 v26, v78, v5
	v_fma_f32 v38, -0.5, v37, v92
	v_sub_f32_e32 v37, v79, v41
	v_sub_f32_e32 v74, v5, v78
	v_add_f32_e32 v0, v0, v79
	v_fmac_f32_e32 v72, 0x3f167918, v87
	v_fmac_f32_e32 v70, 0xbf167918, v87
	v_add_f32_e32 v76, v22, v26
	v_add_f32_e32 v22, v79, v5
	v_add_f32_e32 v87, v37, v74
	v_add_f32_e32 v37, v41, v78
	v_add_f32_e32 v0, v0, v5
	v_fma_f32 v22, -0.5, v22, v15
	v_fma_f32 v37, -0.5, v37, v15
	v_add_f32_e32 v15, v78, v0
	v_mul_hi_u32 v0, v110, s1
	v_fma_f32 v23, -0.5, v23, v92
	v_sub_f32_e32 v77, v41, v78
	v_mov_b32_e32 v27, v23
	v_fmac_f32_e32 v27, 0xbf737871, v77
	v_sub_f32_e32 v19, v79, v5
	v_mov_b32_e32 v75, v38
	v_fmac_f32_e32 v23, 0x3f737871, v77
	v_fmac_f32_e32 v27, 0xbf167918, v19
	;; [unrolled: 1-line block ×5, first 2 shown]
	v_lshrrev_b32_e32 v0, 7, v0
	v_lshlrev_b64 v[19:20], 3, v[20:21]
	v_mul_u32_u24_e32 v0, 0x188, v0
	v_sub_u32_e32 v5, v110, v0
	v_mov_b32_e32 v0, s11
	v_add_co_u32_e32 v19, vcc, s10, v19
	v_addc_co_u32_e32 v20, vcc, v0, v20, vcc
	v_lshlrev_b64 v[0:1], 3, v[1:2]
	v_mov_b32_e32 v26, v22
	v_add_co_u32_e32 v2, vcc, v19, v0
	v_addc_co_u32_e32 v19, vcc, v20, v1, vcc
	v_lshlrev_b32_e32 v0, 3, v5
	v_mov_b32_e32 v74, v37
	v_fmac_f32_e32 v22, 0xbf737871, v80
	v_add_co_u32_e32 v0, vcc, v2, v0
	v_fmac_f32_e32 v74, 0x3f737871, v81
	v_fmac_f32_e32 v22, 0xbf167918, v81
	v_addc_co_u32_e32 v1, vcc, 0, v19, vcc
	v_fmac_f32_e32 v75, 0x3f167918, v77
	v_fmac_f32_e32 v74, 0xbf167918, v80
	;; [unrolled: 1-line block ×4, first 2 shown]
	global_store_dwordx2 v[0:1], v[15:16], off
	global_store_dwordx2 v[0:1], v[22:23], off offset:3136
	v_add_co_u32_e32 v15, vcc, s0, v0
	v_fmac_f32_e32 v75, 0x3e9e377a, v82
	v_fmac_f32_e32 v74, 0x3e9e377a, v87
	;; [unrolled: 1-line block ×3, first 2 shown]
	v_addc_co_u32_e32 v16, vcc, 0, v1, vcc
	s_movk_i32 s0, 0x2000
	v_fmac_f32_e32 v38, 0xbf167918, v77
	v_fmac_f32_e32 v37, 0x3f167918, v80
	global_store_dwordx2 v[15:16], v[74:75], off offset:2176
	v_add_co_u32_e32 v15, vcc, s0, v0
	v_fmac_f32_e32 v38, 0x3e9e377a, v82
	v_fmac_f32_e32 v37, 0x3e9e377a, v87
	v_addc_co_u32_e32 v16, vcc, 0, v1, vcc
	v_add_u32_e32 v5, 56, v110
	global_store_dwordx2 v[15:16], v[37:38], off offset:1216
	v_mul_hi_u32 v15, v5, s1
	v_fmac_f32_e32 v26, 0x3f737871, v80
	s_movk_i32 s0, 0x3000
	v_fmac_f32_e32 v26, 0x3f167918, v81
	v_add_co_u32_e32 v0, vcc, s0, v0
	v_fmac_f32_e32 v27, 0x3e9e377a, v86
	v_fmac_f32_e32 v26, 0x3e9e377a, v76
	v_addc_co_u32_e32 v1, vcc, 0, v1, vcc
	global_store_dwordx2 v[0:1], v[26:27], off offset:256
	v_lshrrev_b32_e32 v0, 7, v15
	v_mul_u32_u24_e32 v1, 0x188, v0
	v_sub_u32_e32 v1, v5, v1
	s_movk_i32 s0, 0x7a8
	v_mad_u32_u24 v5, v0, s0, v1
	v_lshlrev_b64 v[0:1], 3, v[5:6]
	v_fmac_f32_e32 v36, 0x3e9e377a, v98
	v_add_co_u32_e32 v0, vcc, v2, v0
	v_addc_co_u32_e32 v1, vcc, v19, v1, vcc
	global_store_dwordx2 v[0:1], v[83:84], off
	v_add_u32_e32 v0, 0x188, v5
	v_mov_b32_e32 v1, v6
	v_lshlrev_b64 v[0:1], 3, v[0:1]
	v_fmac_f32_e32 v71, 0x3e9e377a, v94
	v_add_co_u32_e32 v0, vcc, v2, v0
	v_addc_co_u32_e32 v1, vcc, v19, v1, vcc
	global_store_dwordx2 v[0:1], v[35:36], off
	v_add_u32_e32 v0, 0x310, v5
	v_mov_b32_e32 v1, v6
	;; [unrolled: 7-line block ×3, first 2 shown]
	v_lshlrev_b64 v[0:1], 3, v[0:1]
	v_fmac_f32_e32 v73, 0x3e9e377a, v94
	v_add_co_u32_e32 v0, vcc, v2, v0
	v_fmac_f32_e32 v72, 0x3e9e377a, v96
	v_addc_co_u32_e32 v1, vcc, v19, v1, vcc
	v_add_u32_e32 v5, 0x620, v5
	global_store_dwordx2 v[0:1], v[72:73], off
	v_lshlrev_b64 v[0:1], 3, v[5:6]
	v_add_u32_e32 v5, 0x70, v110
	v_mul_hi_u32 v15, v5, s1
	v_add_co_u32_e32 v0, vcc, v2, v0
	v_fmac_f32_e32 v40, 0x3e9e377a, v98
	v_addc_co_u32_e32 v1, vcc, v19, v1, vcc
	global_store_dwordx2 v[0:1], v[39:40], off
	v_lshrrev_b32_e32 v0, 7, v15
	v_mul_u32_u24_e32 v1, 0x188, v0
	v_sub_u32_e32 v1, v5, v1
	v_mad_u32_u24 v5, v0, s0, v1
	v_lshlrev_b64 v[0:1], 3, v[5:6]
	v_add_co_u32_e32 v0, vcc, v2, v0
	v_addc_co_u32_e32 v1, vcc, v19, v1, vcc
	global_store_dwordx2 v[0:1], v[44:45], off
	v_add_u32_e32 v0, 0x188, v5
	v_mov_b32_e32 v1, v6
	v_lshlrev_b64 v[0:1], 3, v[0:1]
	v_add_co_u32_e32 v0, vcc, v2, v0
	v_addc_co_u32_e32 v1, vcc, v19, v1, vcc
	global_store_dwordx2 v[0:1], v[54:55], off
	v_add_u32_e32 v0, 0x310, v5
	v_mov_b32_e32 v1, v6
	v_lshlrev_b64 v[0:1], 3, v[0:1]
	v_add_co_u32_e32 v0, vcc, v2, v0
	v_addc_co_u32_e32 v1, vcc, v19, v1, vcc
	global_store_dwordx2 v[0:1], v[58:59], off
	v_add_u32_e32 v0, 0x498, v5
	v_mov_b32_e32 v1, v6
	v_lshlrev_b64 v[0:1], 3, v[0:1]
	v_add_u32_e32 v5, 0x620, v5
	v_add_co_u32_e32 v0, vcc, v2, v0
	v_addc_co_u32_e32 v1, vcc, v19, v1, vcc
	global_store_dwordx2 v[0:1], v[88:89], off
	v_lshlrev_b64 v[0:1], 3, v[5:6]
	v_add_u32_e32 v5, 0xa8, v110
	v_mul_hi_u32 v15, v5, s1
	v_add_co_u32_e32 v0, vcc, v2, v0
	v_addc_co_u32_e32 v1, vcc, v19, v1, vcc
	global_store_dwordx2 v[0:1], v[52:53], off
	v_lshrrev_b32_e32 v0, 7, v15
	v_mul_u32_u24_e32 v1, 0x188, v0
	v_sub_u32_e32 v1, v5, v1
	v_mad_u32_u24 v5, v0, s0, v1
	v_lshlrev_b64 v[0:1], 3, v[5:6]
	v_add_co_u32_e32 v0, vcc, v2, v0
	v_addc_co_u32_e32 v1, vcc, v19, v1, vcc
	global_store_dwordx2 v[0:1], v[68:69], off
	v_add_u32_e32 v0, 0x188, v5
	v_mov_b32_e32 v1, v6
	v_lshlrev_b64 v[0:1], 3, v[0:1]
	v_add_co_u32_e32 v0, vcc, v2, v0
	v_addc_co_u32_e32 v1, vcc, v19, v1, vcc
	global_store_dwordx2 v[0:1], v[66:67], off
	v_add_u32_e32 v0, 0x310, v5
	v_mov_b32_e32 v1, v6
	v_lshlrev_b64 v[0:1], 3, v[0:1]
	v_add_co_u32_e32 v0, vcc, v2, v0
	v_addc_co_u32_e32 v1, vcc, v19, v1, vcc
	global_store_dwordx2 v[0:1], v[62:63], off
	v_add_u32_e32 v0, 0x498, v5
	v_mov_b32_e32 v1, v6
	v_lshlrev_b64 v[0:1], 3, v[0:1]
	v_add_u32_e32 v5, 0x620, v5
	v_add_co_u32_e32 v0, vcc, v2, v0
	v_addc_co_u32_e32 v1, vcc, v19, v1, vcc
	global_store_dwordx2 v[0:1], v[60:61], off
	v_lshlrev_b64 v[0:1], 3, v[5:6]
	v_add_u32_e32 v5, 0xe0, v110
	v_mul_hi_u32 v15, v5, s1
	v_add_co_u32_e32 v0, vcc, v2, v0
	;; [unrolled: 33-line block ×4, first 2 shown]
	v_addc_co_u32_e32 v1, vcc, v19, v1, vcc
	global_store_dwordx2 v[0:1], v[17:18], off
	v_lshrrev_b32_e32 v0, 7, v15
	v_mul_u32_u24_e32 v1, 0x188, v0
	v_sub_u32_e32 v1, v5, v1
	v_mad_u32_u24 v5, v0, s0, v1
	v_lshlrev_b64 v[0:1], 3, v[5:6]
	v_add_co_u32_e32 v0, vcc, v2, v0
	v_addc_co_u32_e32 v1, vcc, v19, v1, vcc
	global_store_dwordx2 v[0:1], v[13:14], off
	v_add_u32_e32 v0, 0x188, v5
	v_mov_b32_e32 v1, v6
	v_lshlrev_b64 v[0:1], 3, v[0:1]
	v_add_co_u32_e32 v0, vcc, v2, v0
	v_addc_co_u32_e32 v1, vcc, v19, v1, vcc
	global_store_dwordx2 v[0:1], v[11:12], off
	v_add_u32_e32 v0, 0x310, v5
	v_mov_b32_e32 v1, v6
	;; [unrolled: 6-line block ×3, first 2 shown]
	v_lshlrev_b64 v[0:1], 3, v[0:1]
	v_add_u32_e32 v5, 0x620, v5
	v_add_co_u32_e32 v0, vcc, v2, v0
	v_addc_co_u32_e32 v1, vcc, v19, v1, vcc
	global_store_dwordx2 v[0:1], v[7:8], off
	v_lshlrev_b64 v[0:1], 3, v[5:6]
	v_add_co_u32_e32 v0, vcc, v2, v0
	v_addc_co_u32_e32 v1, vcc, v19, v1, vcc
	global_store_dwordx2 v[0:1], v[3:4], off
.LBB0_29:
	s_endpgm
	.section	.rodata,"a",@progbits
	.p2align	6, 0x0
	.amdhsa_kernel fft_rtc_back_len1960_factors_4_7_2_7_5_wgs_56_tpt_56_halfLds_sp_op_CI_CI_unitstride_sbrr_dirReg
		.amdhsa_group_segment_fixed_size 0
		.amdhsa_private_segment_fixed_size 0
		.amdhsa_kernarg_size 104
		.amdhsa_user_sgpr_count 6
		.amdhsa_user_sgpr_private_segment_buffer 1
		.amdhsa_user_sgpr_dispatch_ptr 0
		.amdhsa_user_sgpr_queue_ptr 0
		.amdhsa_user_sgpr_kernarg_segment_ptr 1
		.amdhsa_user_sgpr_dispatch_id 0
		.amdhsa_user_sgpr_flat_scratch_init 0
		.amdhsa_user_sgpr_private_segment_size 0
		.amdhsa_uses_dynamic_stack 0
		.amdhsa_system_sgpr_private_segment_wavefront_offset 0
		.amdhsa_system_sgpr_workgroup_id_x 1
		.amdhsa_system_sgpr_workgroup_id_y 0
		.amdhsa_system_sgpr_workgroup_id_z 0
		.amdhsa_system_sgpr_workgroup_info 0
		.amdhsa_system_vgpr_workitem_id 0
		.amdhsa_next_free_vgpr 157
		.amdhsa_next_free_sgpr 28
		.amdhsa_reserve_vcc 1
		.amdhsa_reserve_flat_scratch 0
		.amdhsa_float_round_mode_32 0
		.amdhsa_float_round_mode_16_64 0
		.amdhsa_float_denorm_mode_32 3
		.amdhsa_float_denorm_mode_16_64 3
		.amdhsa_dx10_clamp 1
		.amdhsa_ieee_mode 1
		.amdhsa_fp16_overflow 0
		.amdhsa_exception_fp_ieee_invalid_op 0
		.amdhsa_exception_fp_denorm_src 0
		.amdhsa_exception_fp_ieee_div_zero 0
		.amdhsa_exception_fp_ieee_overflow 0
		.amdhsa_exception_fp_ieee_underflow 0
		.amdhsa_exception_fp_ieee_inexact 0
		.amdhsa_exception_int_div_zero 0
	.end_amdhsa_kernel
	.text
.Lfunc_end0:
	.size	fft_rtc_back_len1960_factors_4_7_2_7_5_wgs_56_tpt_56_halfLds_sp_op_CI_CI_unitstride_sbrr_dirReg, .Lfunc_end0-fft_rtc_back_len1960_factors_4_7_2_7_5_wgs_56_tpt_56_halfLds_sp_op_CI_CI_unitstride_sbrr_dirReg
                                        ; -- End function
	.section	.AMDGPU.csdata,"",@progbits
; Kernel info:
; codeLenInByte = 18584
; NumSgprs: 32
; NumVgprs: 157
; ScratchSize: 0
; MemoryBound: 0
; FloatMode: 240
; IeeeMode: 1
; LDSByteSize: 0 bytes/workgroup (compile time only)
; SGPRBlocks: 3
; VGPRBlocks: 39
; NumSGPRsForWavesPerEU: 32
; NumVGPRsForWavesPerEU: 157
; Occupancy: 1
; WaveLimiterHint : 1
; COMPUTE_PGM_RSRC2:SCRATCH_EN: 0
; COMPUTE_PGM_RSRC2:USER_SGPR: 6
; COMPUTE_PGM_RSRC2:TRAP_HANDLER: 0
; COMPUTE_PGM_RSRC2:TGID_X_EN: 1
; COMPUTE_PGM_RSRC2:TGID_Y_EN: 0
; COMPUTE_PGM_RSRC2:TGID_Z_EN: 0
; COMPUTE_PGM_RSRC2:TIDIG_COMP_CNT: 0
	.type	__hip_cuid_d6d30489e4600720,@object ; @__hip_cuid_d6d30489e4600720
	.section	.bss,"aw",@nobits
	.globl	__hip_cuid_d6d30489e4600720
__hip_cuid_d6d30489e4600720:
	.byte	0                               ; 0x0
	.size	__hip_cuid_d6d30489e4600720, 1

	.ident	"AMD clang version 19.0.0git (https://github.com/RadeonOpenCompute/llvm-project roc-6.4.0 25133 c7fe45cf4b819c5991fe208aaa96edf142730f1d)"
	.section	".note.GNU-stack","",@progbits
	.addrsig
	.addrsig_sym __hip_cuid_d6d30489e4600720
	.amdgpu_metadata
---
amdhsa.kernels:
  - .args:
      - .actual_access:  read_only
        .address_space:  global
        .offset:         0
        .size:           8
        .value_kind:     global_buffer
      - .offset:         8
        .size:           8
        .value_kind:     by_value
      - .actual_access:  read_only
        .address_space:  global
        .offset:         16
        .size:           8
        .value_kind:     global_buffer
      - .actual_access:  read_only
        .address_space:  global
        .offset:         24
        .size:           8
        .value_kind:     global_buffer
      - .actual_access:  read_only
        .address_space:  global
        .offset:         32
        .size:           8
        .value_kind:     global_buffer
      - .offset:         40
        .size:           8
        .value_kind:     by_value
      - .actual_access:  read_only
        .address_space:  global
        .offset:         48
        .size:           8
        .value_kind:     global_buffer
      - .actual_access:  read_only
        .address_space:  global
        .offset:         56
        .size:           8
        .value_kind:     global_buffer
      - .offset:         64
        .size:           4
        .value_kind:     by_value
      - .actual_access:  read_only
        .address_space:  global
        .offset:         72
        .size:           8
        .value_kind:     global_buffer
      - .actual_access:  read_only
        .address_space:  global
        .offset:         80
        .size:           8
        .value_kind:     global_buffer
      - .actual_access:  read_only
        .address_space:  global
        .offset:         88
        .size:           8
        .value_kind:     global_buffer
      - .actual_access:  write_only
        .address_space:  global
        .offset:         96
        .size:           8
        .value_kind:     global_buffer
    .group_segment_fixed_size: 0
    .kernarg_segment_align: 8
    .kernarg_segment_size: 104
    .language:       OpenCL C
    .language_version:
      - 2
      - 0
    .max_flat_workgroup_size: 56
    .name:           fft_rtc_back_len1960_factors_4_7_2_7_5_wgs_56_tpt_56_halfLds_sp_op_CI_CI_unitstride_sbrr_dirReg
    .private_segment_fixed_size: 0
    .sgpr_count:     32
    .sgpr_spill_count: 0
    .symbol:         fft_rtc_back_len1960_factors_4_7_2_7_5_wgs_56_tpt_56_halfLds_sp_op_CI_CI_unitstride_sbrr_dirReg.kd
    .uniform_work_group_size: 1
    .uses_dynamic_stack: false
    .vgpr_count:     157
    .vgpr_spill_count: 0
    .wavefront_size: 64
amdhsa.target:   amdgcn-amd-amdhsa--gfx906
amdhsa.version:
  - 1
  - 2
...

	.end_amdgpu_metadata
